;; amdgpu-corpus repo=ROCm/rocFFT kind=compiled arch=gfx1030 opt=O3
	.text
	.amdgcn_target "amdgcn-amd-amdhsa--gfx1030"
	.amdhsa_code_object_version 6
	.protected	fft_rtc_back_len546_factors_13_3_7_2_wgs_117_tpt_39_halfLds_dp_op_CI_CI_unitstride_sbrr_C2R_dirReg ; -- Begin function fft_rtc_back_len546_factors_13_3_7_2_wgs_117_tpt_39_halfLds_dp_op_CI_CI_unitstride_sbrr_C2R_dirReg
	.globl	fft_rtc_back_len546_factors_13_3_7_2_wgs_117_tpt_39_halfLds_dp_op_CI_CI_unitstride_sbrr_C2R_dirReg
	.p2align	8
	.type	fft_rtc_back_len546_factors_13_3_7_2_wgs_117_tpt_39_halfLds_dp_op_CI_CI_unitstride_sbrr_C2R_dirReg,@function
fft_rtc_back_len546_factors_13_3_7_2_wgs_117_tpt_39_halfLds_dp_op_CI_CI_unitstride_sbrr_C2R_dirReg: ; @fft_rtc_back_len546_factors_13_3_7_2_wgs_117_tpt_39_halfLds_dp_op_CI_CI_unitstride_sbrr_C2R_dirReg
; %bb.0:
	s_load_dwordx4 s[12:15], s[4:5], 0x0
	v_mul_u32_u24_e32 v1, 0x691, v0
	s_clause 0x1
	s_load_dwordx4 s[8:11], s[4:5], 0x58
	s_load_dwordx4 s[16:19], s[4:5], 0x18
	v_mov_b32_e32 v5, 0
	v_lshrrev_b32_e32 v3, 16, v1
	v_mov_b32_e32 v1, 0
	v_mov_b32_e32 v2, 0
	v_mad_u64_u32 v[3:4], null, s6, 3, v[3:4]
	v_mov_b32_e32 v4, v5
	v_mov_b32_e32 v81, v2
	;; [unrolled: 1-line block ×5, first 2 shown]
	s_waitcnt lgkmcnt(0)
	v_cmp_lt_u64_e64 s0, s[14:15], 2
	s_and_b32 vcc_lo, exec_lo, s0
	s_cbranch_vccnz .LBB0_8
; %bb.1:
	s_load_dwordx2 s[0:1], s[4:5], 0x10
	v_mov_b32_e32 v1, 0
	v_mov_b32_e32 v2, 0
	s_add_u32 s2, s18, 8
	v_mov_b32_e32 v8, v4
	s_addc_u32 s3, s19, 0
	v_mov_b32_e32 v7, v3
	v_mov_b32_e32 v81, v2
	s_add_u32 s6, s16, 8
	v_mov_b32_e32 v80, v1
	s_addc_u32 s7, s17, 0
	s_mov_b64 s[22:23], 1
	s_waitcnt lgkmcnt(0)
	s_add_u32 s20, s0, 8
	s_addc_u32 s21, s1, 0
.LBB0_2:                                ; =>This Inner Loop Header: Depth=1
	s_load_dwordx2 s[24:25], s[20:21], 0x0
                                        ; implicit-def: $vgpr84_vgpr85
	s_mov_b32 s0, exec_lo
	s_waitcnt lgkmcnt(0)
	v_or_b32_e32 v6, s25, v8
	v_cmpx_ne_u64_e32 0, v[5:6]
	s_xor_b32 s1, exec_lo, s0
	s_cbranch_execz .LBB0_4
; %bb.3:                                ;   in Loop: Header=BB0_2 Depth=1
	v_cvt_f32_u32_e32 v4, s24
	v_cvt_f32_u32_e32 v6, s25
	s_sub_u32 s0, 0, s24
	s_subb_u32 s26, 0, s25
	v_fmac_f32_e32 v4, 0x4f800000, v6
	v_rcp_f32_e32 v4, v4
	v_mul_f32_e32 v4, 0x5f7ffffc, v4
	v_mul_f32_e32 v6, 0x2f800000, v4
	v_trunc_f32_e32 v6, v6
	v_fmac_f32_e32 v4, 0xcf800000, v6
	v_cvt_u32_f32_e32 v6, v6
	v_cvt_u32_f32_e32 v4, v4
	v_mul_lo_u32 v9, s0, v6
	v_mul_hi_u32 v10, s0, v4
	v_mul_lo_u32 v11, s26, v4
	v_add_nc_u32_e32 v9, v10, v9
	v_mul_lo_u32 v10, s0, v4
	v_add_nc_u32_e32 v9, v9, v11
	v_mul_hi_u32 v11, v4, v10
	v_mul_lo_u32 v12, v4, v9
	v_mul_hi_u32 v13, v4, v9
	v_mul_hi_u32 v14, v6, v10
	v_mul_lo_u32 v10, v6, v10
	v_mul_hi_u32 v15, v6, v9
	v_mul_lo_u32 v9, v6, v9
	v_add_co_u32 v11, vcc_lo, v11, v12
	v_add_co_ci_u32_e32 v12, vcc_lo, 0, v13, vcc_lo
	v_add_co_u32 v10, vcc_lo, v11, v10
	v_add_co_ci_u32_e32 v10, vcc_lo, v12, v14, vcc_lo
	v_add_co_ci_u32_e32 v11, vcc_lo, 0, v15, vcc_lo
	v_add_co_u32 v9, vcc_lo, v10, v9
	v_add_co_ci_u32_e32 v10, vcc_lo, 0, v11, vcc_lo
	v_add_co_u32 v4, vcc_lo, v4, v9
	v_add_co_ci_u32_e32 v6, vcc_lo, v6, v10, vcc_lo
	v_mul_hi_u32 v9, s0, v4
	v_mul_lo_u32 v11, s26, v4
	v_mul_lo_u32 v10, s0, v6
	v_add_nc_u32_e32 v9, v9, v10
	v_mul_lo_u32 v10, s0, v4
	v_add_nc_u32_e32 v9, v9, v11
	v_mul_hi_u32 v11, v4, v10
	v_mul_lo_u32 v12, v4, v9
	v_mul_hi_u32 v13, v4, v9
	v_mul_hi_u32 v14, v6, v10
	v_mul_lo_u32 v10, v6, v10
	v_mul_hi_u32 v15, v6, v9
	v_mul_lo_u32 v9, v6, v9
	v_add_co_u32 v11, vcc_lo, v11, v12
	v_add_co_ci_u32_e32 v12, vcc_lo, 0, v13, vcc_lo
	v_add_co_u32 v10, vcc_lo, v11, v10
	v_add_co_ci_u32_e32 v10, vcc_lo, v12, v14, vcc_lo
	v_add_co_ci_u32_e32 v11, vcc_lo, 0, v15, vcc_lo
	v_add_co_u32 v9, vcc_lo, v10, v9
	v_add_co_ci_u32_e32 v10, vcc_lo, 0, v11, vcc_lo
	v_add_co_u32 v4, vcc_lo, v4, v9
	v_add_co_ci_u32_e32 v6, vcc_lo, v6, v10, vcc_lo
	v_mul_hi_u32 v15, v7, v4
	v_mad_u64_u32 v[11:12], null, v8, v4, 0
	v_mad_u64_u32 v[9:10], null, v7, v6, 0
	;; [unrolled: 1-line block ×3, first 2 shown]
	v_add_co_u32 v4, vcc_lo, v15, v9
	v_add_co_ci_u32_e32 v6, vcc_lo, 0, v10, vcc_lo
	v_add_co_u32 v4, vcc_lo, v4, v11
	v_add_co_ci_u32_e32 v4, vcc_lo, v6, v12, vcc_lo
	v_add_co_ci_u32_e32 v6, vcc_lo, 0, v14, vcc_lo
	v_add_co_u32 v4, vcc_lo, v4, v13
	v_add_co_ci_u32_e32 v6, vcc_lo, 0, v6, vcc_lo
	v_mul_lo_u32 v11, s25, v4
	v_mad_u64_u32 v[9:10], null, s24, v4, 0
	v_mul_lo_u32 v12, s24, v6
	v_sub_co_u32 v9, vcc_lo, v7, v9
	v_add3_u32 v10, v10, v12, v11
	v_sub_nc_u32_e32 v11, v8, v10
	v_subrev_co_ci_u32_e64 v11, s0, s25, v11, vcc_lo
	v_add_co_u32 v12, s0, v4, 2
	v_add_co_ci_u32_e64 v13, s0, 0, v6, s0
	v_sub_co_u32 v14, s0, v9, s24
	v_sub_co_ci_u32_e32 v10, vcc_lo, v8, v10, vcc_lo
	v_subrev_co_ci_u32_e64 v11, s0, 0, v11, s0
	v_cmp_le_u32_e32 vcc_lo, s24, v14
	v_cmp_eq_u32_e64 s0, s25, v10
	v_cndmask_b32_e64 v14, 0, -1, vcc_lo
	v_cmp_le_u32_e32 vcc_lo, s25, v11
	v_cndmask_b32_e64 v15, 0, -1, vcc_lo
	v_cmp_le_u32_e32 vcc_lo, s24, v9
	;; [unrolled: 2-line block ×3, first 2 shown]
	v_cndmask_b32_e64 v16, 0, -1, vcc_lo
	v_cmp_eq_u32_e32 vcc_lo, s25, v11
	v_cndmask_b32_e64 v9, v16, v9, s0
	v_cndmask_b32_e32 v11, v15, v14, vcc_lo
	v_add_co_u32 v14, vcc_lo, v4, 1
	v_add_co_ci_u32_e32 v15, vcc_lo, 0, v6, vcc_lo
	v_cmp_ne_u32_e32 vcc_lo, 0, v11
	v_cndmask_b32_e32 v10, v15, v13, vcc_lo
	v_cndmask_b32_e32 v11, v14, v12, vcc_lo
	v_cmp_ne_u32_e32 vcc_lo, 0, v9
	v_cndmask_b32_e32 v85, v6, v10, vcc_lo
	v_cndmask_b32_e32 v84, v4, v11, vcc_lo
.LBB0_4:                                ;   in Loop: Header=BB0_2 Depth=1
	s_andn2_saveexec_b32 s0, s1
	s_cbranch_execz .LBB0_6
; %bb.5:                                ;   in Loop: Header=BB0_2 Depth=1
	v_cvt_f32_u32_e32 v4, s24
	s_sub_i32 s1, 0, s24
	v_mov_b32_e32 v85, v5
	v_rcp_iflag_f32_e32 v4, v4
	v_mul_f32_e32 v4, 0x4f7ffffe, v4
	v_cvt_u32_f32_e32 v4, v4
	v_mul_lo_u32 v6, s1, v4
	v_mul_hi_u32 v6, v4, v6
	v_add_nc_u32_e32 v4, v4, v6
	v_mul_hi_u32 v4, v7, v4
	v_mul_lo_u32 v6, v4, s24
	v_add_nc_u32_e32 v9, 1, v4
	v_sub_nc_u32_e32 v6, v7, v6
	v_subrev_nc_u32_e32 v10, s24, v6
	v_cmp_le_u32_e32 vcc_lo, s24, v6
	v_cndmask_b32_e32 v6, v6, v10, vcc_lo
	v_cndmask_b32_e32 v4, v4, v9, vcc_lo
	v_cmp_le_u32_e32 vcc_lo, s24, v6
	v_add_nc_u32_e32 v9, 1, v4
	v_cndmask_b32_e32 v84, v4, v9, vcc_lo
.LBB0_6:                                ;   in Loop: Header=BB0_2 Depth=1
	s_or_b32 exec_lo, exec_lo, s0
	v_mul_lo_u32 v4, v85, s24
	v_mul_lo_u32 v6, v84, s25
	s_load_dwordx2 s[0:1], s[6:7], 0x0
	v_mad_u64_u32 v[9:10], null, v84, s24, 0
	s_load_dwordx2 s[24:25], s[2:3], 0x0
	s_add_u32 s22, s22, 1
	s_addc_u32 s23, s23, 0
	s_add_u32 s2, s2, 8
	s_addc_u32 s3, s3, 0
	s_add_u32 s6, s6, 8
	v_add3_u32 v4, v10, v6, v4
	v_sub_co_u32 v6, vcc_lo, v7, v9
	s_addc_u32 s7, s7, 0
	s_add_u32 s20, s20, 8
	v_sub_co_ci_u32_e32 v4, vcc_lo, v8, v4, vcc_lo
	s_addc_u32 s21, s21, 0
	s_waitcnt lgkmcnt(0)
	v_mul_lo_u32 v7, s0, v4
	v_mul_lo_u32 v8, s1, v6
	v_mad_u64_u32 v[1:2], null, s0, v6, v[1:2]
	v_mul_lo_u32 v4, s24, v4
	v_mul_lo_u32 v9, s25, v6
	v_mad_u64_u32 v[80:81], null, s24, v6, v[80:81]
	v_cmp_ge_u64_e64 s0, s[22:23], s[14:15]
	v_add3_u32 v2, v8, v2, v7
	v_add3_u32 v81, v9, v81, v4
	s_and_b32 vcc_lo, exec_lo, s0
	s_cbranch_vccnz .LBB0_8
; %bb.7:                                ;   in Loop: Header=BB0_2 Depth=1
	v_mov_b32_e32 v7, v84
	v_mov_b32_e32 v8, v85
	s_branch .LBB0_2
.LBB0_8:
	s_load_dwordx2 s[0:1], s[4:5], 0x28
	v_mul_hi_u32 v4, 0xaaaaaaab, v3
	v_mul_hi_u32 v6, 0x6906907, v0
	s_lshl_b64 s[4:5], s[14:15], 3
                                        ; implicit-def: $vgpr82
	s_add_u32 s2, s18, s4
	s_addc_u32 s3, s19, s5
	v_lshrrev_b32_e32 v4, 1, v4
	v_lshl_add_u32 v4, v4, 1, v4
	v_sub_nc_u32_e32 v3, v3, v4
	s_waitcnt lgkmcnt(0)
	v_cmp_gt_u64_e32 vcc_lo, s[0:1], v[84:85]
	v_cmp_le_u64_e64 s0, s[0:1], v[84:85]
                                        ; implicit-def: $vgpr4_vgpr5
	s_and_saveexec_b32 s1, s0
	s_xor_b32 s0, exec_lo, s1
; %bb.9:
	v_mul_u32_u24_e32 v1, 39, v6
	v_mov_b32_e32 v83, 0
                                        ; implicit-def: $vgpr6
	v_sub_nc_u32_e32 v82, v0, v1
                                        ; implicit-def: $vgpr0
                                        ; implicit-def: $vgpr1_vgpr2
	v_mov_b32_e32 v4, v82
	v_mov_b32_e32 v5, v83
; %bb.10:
	s_or_saveexec_b32 s1, s0
	s_load_dwordx2 s[2:3], s[2:3], 0x0
	v_mul_u32_u24_e32 v158, 0x223, v3
	v_lshlrev_b32_e32 v162, 4, v158
	s_xor_b32 exec_lo, exec_lo, s1
	s_cbranch_execz .LBB0_14
; %bb.11:
	s_add_u32 s4, s16, s4
	s_addc_u32 s5, s17, s5
	v_lshlrev_b64 v[1:2], 4, v[1:2]
	s_load_dwordx2 s[4:5], s[4:5], 0x0
	v_mov_b32_e32 v83, 0
	s_waitcnt lgkmcnt(0)
	v_mul_lo_u32 v5, s5, v84
	v_mul_lo_u32 v7, s4, v85
	v_mad_u64_u32 v[3:4], null, s4, v84, 0
	s_mov_b32 s4, exec_lo
	v_add3_u32 v4, v4, v7, v5
	v_mul_u32_u24_e32 v5, 39, v6
	v_lshlrev_b64 v[3:4], 4, v[3:4]
	v_sub_nc_u32_e32 v82, v0, v5
	v_lshlrev_b32_e32 v62, 4, v82
	v_add_co_u32 v0, s0, s8, v3
	v_add_co_ci_u32_e64 v3, s0, s9, v4, s0
	v_add_co_u32 v0, s0, v0, v1
	v_add_co_ci_u32_e64 v1, s0, v3, v2, s0
	;; [unrolled: 2-line block ×3, first 2 shown]
	s_clause 0x3
	global_load_dwordx4 v[6:9], v[2:3], off
	global_load_dwordx4 v[10:13], v[2:3], off offset:624
	global_load_dwordx4 v[14:17], v[2:3], off offset:1248
	;; [unrolled: 1-line block ×3, first 2 shown]
	v_add_co_u32 v4, s0, 0x800, v2
	v_add_co_ci_u32_e64 v5, s0, 0, v3, s0
	v_add_co_u32 v42, s0, 0x1000, v2
	v_add_co_ci_u32_e64 v43, s0, 0, v3, s0
	;; [unrolled: 2-line block ×3, first 2 shown]
	s_clause 0x9
	global_load_dwordx4 v[22:25], v[4:5], off offset:448
	global_load_dwordx4 v[26:29], v[4:5], off offset:1072
	global_load_dwordx4 v[30:33], v[4:5], off offset:1696
	global_load_dwordx4 v[34:37], v[42:43], off offset:272
	global_load_dwordx4 v[38:41], v[42:43], off offset:896
	global_load_dwordx4 v[42:45], v[42:43], off offset:1520
	global_load_dwordx4 v[46:49], v[2:3], off offset:96
	global_load_dwordx4 v[50:53], v[2:3], off offset:720
	global_load_dwordx4 v[54:57], v[2:3], off offset:1344
	global_load_dwordx4 v[58:61], v[2:3], off offset:1968
	v_mov_b32_e32 v4, v82
	v_add3_u32 v2, 0, v162, v62
	v_mov_b32_e32 v5, v83
	s_waitcnt vmcnt(13)
	ds_write_b128 v2, v[6:9]
	s_waitcnt vmcnt(12)
	ds_write_b128 v2, v[10:13] offset:624
	s_waitcnt vmcnt(11)
	ds_write_b128 v2, v[14:17] offset:1248
	;; [unrolled: 2-line block ×13, first 2 shown]
	v_cmpx_eq_u32_e32 38, v82
	s_cbranch_execz .LBB0_13
; %bb.12:
	v_add_co_u32 v0, s0, 0x2000, v0
	v_add_co_ci_u32_e64 v1, s0, 0, v1, s0
	v_mov_b32_e32 v4, 38
	v_mov_b32_e32 v5, 0
	;; [unrolled: 1-line block ×3, first 2 shown]
	global_load_dwordx4 v[6:9], v[0:1], off offset:544
	s_waitcnt vmcnt(0)
	ds_write_b128 v2, v[6:9] offset:8128
.LBB0_13:
	s_or_b32 exec_lo, exec_lo, s4
.LBB0_14:
	s_or_b32 exec_lo, exec_lo, s1
	v_lshl_add_u32 v159, v158, 4, 0
	v_lshlrev_b32_e32 v0, 4, v82
	s_waitcnt lgkmcnt(0)
	s_barrier
	buffer_gl0_inv
	v_lshlrev_b64 v[88:89], 4, v[4:5]
	v_add_nc_u32_e32 v160, v159, v0
	v_sub_nc_u32_e32 v6, v159, v0
	s_add_u32 s1, s12, 0x2150
	s_addc_u32 s4, s13, 0
	ds_read_b64 v[2:3], v160
	ds_read_b64 v[7:8], v6 offset:8736
	s_mov_b32 s5, exec_lo
	s_waitcnt lgkmcnt(0)
	v_add_f64 v[0:1], v[2:3], v[7:8]
	v_add_f64 v[2:3], v[2:3], -v[7:8]
	v_cmpx_ne_u32_e32 0, v82
	s_xor_b32 s5, exec_lo, s5
	s_cbranch_execz .LBB0_16
; %bb.15:
	v_add_co_u32 v4, s0, s1, v88
	v_add_co_ci_u32_e64 v5, s0, s4, v89, s0
	global_load_dwordx4 v[7:10], v[4:5], off
	ds_read_b64 v[4:5], v6 offset:8744
	ds_read_b64 v[11:12], v160 offset:8
	s_waitcnt lgkmcnt(0)
	v_add_f64 v[13:14], v[4:5], v[11:12]
	v_add_f64 v[4:5], v[11:12], -v[4:5]
	s_waitcnt vmcnt(0)
	v_fma_f64 v[11:12], v[2:3], v[9:10], v[0:1]
	v_fma_f64 v[15:16], v[13:14], v[9:10], v[4:5]
	v_fma_f64 v[0:1], -v[2:3], v[9:10], v[0:1]
	v_fma_f64 v[4:5], v[13:14], v[9:10], -v[4:5]
	v_fma_f64 v[9:10], -v[13:14], v[7:8], v[11:12]
	v_fma_f64 v[11:12], v[2:3], v[7:8], v[15:16]
	v_fma_f64 v[0:1], v[13:14], v[7:8], v[0:1]
	;; [unrolled: 1-line block ×3, first 2 shown]
	ds_write_b128 v160, v[9:12]
	ds_write_b128 v6, v[0:3] offset:8736
                                        ; implicit-def: $vgpr0_vgpr1
.LBB0_16:
	s_andn2_saveexec_b32 s0, s5
	s_cbranch_execz .LBB0_18
; %bb.17:
	ds_write_b128 v160, v[0:3]
	ds_read_b128 v[0:3], v159 offset:4368
	s_waitcnt lgkmcnt(0)
	v_add_f64 v[0:1], v[0:1], v[0:1]
	v_mul_f64 v[2:3], v[2:3], -2.0
	ds_write_b128 v159, v[0:3] offset:4368
.LBB0_18:
	s_or_b32 exec_lo, exec_lo, s0
	v_mov_b32_e32 v83, 0
	v_lshl_add_u32 v161, v82, 4, 0
	s_mov_b32 s18, 0x42a4c3d2
	s_mov_b32 s38, 0x66966769
	;; [unrolled: 1-line block ×3, first 2 shown]
	v_lshlrev_b64 v[86:87], 4, v[82:83]
	v_add_nc_u32_e32 v83, v161, v162
	s_mov_b32 s14, 0x24c2f84
	s_mov_b32 s24, 0x4bc48dbf
	;; [unrolled: 1-line block ×4, first 2 shown]
	v_add_co_u32 v4, s0, s1, v86
	v_add_co_ci_u32_e64 v5, s0, s4, v87, s0
	s_mov_b32 s31, 0xbfedeba7
	v_add_co_u32 v27, s0, 0x800, v4
	s_clause 0x2
	global_load_dwordx4 v[0:3], v[4:5], off offset:624
	global_load_dwordx4 v[7:10], v[4:5], off offset:1248
	;; [unrolled: 1-line block ×3, first 2 shown]
	v_add_co_ci_u32_e64 v28, s0, 0, v5, s0
	ds_read_b128 v[15:18], v160 offset:624
	ds_read_b128 v[19:22], v6 offset:8112
	s_mov_b32 s0, 0x4267c47c
	s_mov_b32 s1, 0xbfddbe06
	global_load_dwordx4 v[23:26], v[27:28], off offset:448
	s_mov_b32 s15, 0xbfe5384d
	s_mov_b32 s25, 0xbfcea1e5
	;; [unrolled: 1-line block ×16, first 2 shown]
	s_waitcnt lgkmcnt(0)
	v_add_f64 v[4:5], v[15:16], v[19:20]
	v_add_f64 v[29:30], v[21:22], v[17:18]
	v_add_f64 v[19:20], v[15:16], -v[19:20]
	v_add_f64 v[15:16], v[17:18], -v[21:22]
	s_mov_b32 s37, 0x3fedeba7
	s_mov_b32 s20, s0
	;; [unrolled: 1-line block ×10, first 2 shown]
	s_waitcnt vmcnt(3)
	v_fma_f64 v[17:18], v[19:20], v[2:3], v[4:5]
	v_fma_f64 v[21:22], v[29:30], v[2:3], v[15:16]
	v_fma_f64 v[31:32], -v[19:20], v[2:3], v[4:5]
	v_fma_f64 v[33:34], v[29:30], v[2:3], -v[15:16]
	v_fma_f64 v[2:3], -v[29:30], v[0:1], v[17:18]
	v_fma_f64 v[4:5], v[19:20], v[0:1], v[21:22]
	v_fma_f64 v[15:16], v[29:30], v[0:1], v[31:32]
	;; [unrolled: 1-line block ×3, first 2 shown]
	ds_write_b128 v160, v[2:5] offset:624
	ds_write_b128 v6, v[15:18] offset:8112
	ds_read_b128 v[0:3], v160 offset:1248
	ds_read_b128 v[15:18], v6 offset:7488
	global_load_dwordx4 v[19:22], v[27:28], off offset:1072
	s_waitcnt lgkmcnt(0)
	v_add_f64 v[4:5], v[0:1], v[15:16]
	v_add_f64 v[29:30], v[17:18], v[2:3]
	v_add_f64 v[31:32], v[0:1], -v[15:16]
	v_add_f64 v[0:1], v[2:3], -v[17:18]
	s_waitcnt vmcnt(3)
	v_fma_f64 v[2:3], v[31:32], v[9:10], v[4:5]
	v_fma_f64 v[15:16], v[29:30], v[9:10], v[0:1]
	v_fma_f64 v[4:5], -v[31:32], v[9:10], v[4:5]
	v_fma_f64 v[9:10], v[29:30], v[9:10], -v[0:1]
	v_fma_f64 v[0:1], -v[29:30], v[7:8], v[2:3]
	v_fma_f64 v[2:3], v[31:32], v[7:8], v[15:16]
	v_fma_f64 v[15:16], v[29:30], v[7:8], v[4:5]
	;; [unrolled: 1-line block ×3, first 2 shown]
	ds_write_b128 v160, v[0:3] offset:1248
	ds_write_b128 v6, v[15:18] offset:7488
	ds_read_b128 v[0:3], v160 offset:1872
	ds_read_b128 v[7:10], v6 offset:6864
	global_load_dwordx4 v[15:18], v[27:28], off offset:1696
	s_waitcnt lgkmcnt(0)
	v_add_f64 v[4:5], v[0:1], v[7:8]
	v_add_f64 v[27:28], v[9:10], v[2:3]
	v_add_f64 v[29:30], v[0:1], -v[7:8]
	v_add_f64 v[0:1], v[2:3], -v[9:10]
	s_waitcnt vmcnt(3)
	v_fma_f64 v[2:3], v[29:30], v[13:14], v[4:5]
	v_fma_f64 v[7:8], v[27:28], v[13:14], v[0:1]
	v_fma_f64 v[4:5], -v[29:30], v[13:14], v[4:5]
	v_fma_f64 v[9:10], v[27:28], v[13:14], -v[0:1]
	v_fma_f64 v[0:1], -v[27:28], v[11:12], v[2:3]
	v_fma_f64 v[2:3], v[29:30], v[11:12], v[7:8]
	v_fma_f64 v[7:8], v[27:28], v[11:12], v[4:5]
	v_fma_f64 v[9:10], v[29:30], v[11:12], v[9:10]
	ds_write_b128 v160, v[0:3] offset:1872
	ds_write_b128 v6, v[7:10] offset:6864
	ds_read_b128 v[0:3], v160 offset:2496
	ds_read_b128 v[7:10], v6 offset:6240
	s_waitcnt lgkmcnt(0)
	v_add_f64 v[4:5], v[0:1], v[7:8]
	v_add_f64 v[11:12], v[9:10], v[2:3]
	v_add_f64 v[13:14], v[0:1], -v[7:8]
	v_add_f64 v[0:1], v[2:3], -v[9:10]
	s_waitcnt vmcnt(2)
	v_fma_f64 v[2:3], v[13:14], v[25:26], v[4:5]
	v_fma_f64 v[7:8], v[11:12], v[25:26], v[0:1]
	v_fma_f64 v[4:5], -v[13:14], v[25:26], v[4:5]
	v_fma_f64 v[9:10], v[11:12], v[25:26], -v[0:1]
	v_fma_f64 v[0:1], -v[11:12], v[23:24], v[2:3]
	v_fma_f64 v[2:3], v[13:14], v[23:24], v[7:8]
	v_fma_f64 v[7:8], v[11:12], v[23:24], v[4:5]
	v_fma_f64 v[9:10], v[13:14], v[23:24], v[9:10]
	ds_write_b128 v160, v[0:3] offset:2496
	ds_write_b128 v6, v[7:10] offset:6240
	ds_read_b128 v[0:3], v160 offset:3120
	ds_read_b128 v[7:10], v6 offset:5616
	;; [unrolled: 18-line block ×3, first 2 shown]
	s_waitcnt lgkmcnt(0)
	v_add_f64 v[4:5], v[0:1], v[7:8]
	v_add_f64 v[11:12], v[9:10], v[2:3]
	v_add_f64 v[13:14], v[0:1], -v[7:8]
	v_add_f64 v[0:1], v[2:3], -v[9:10]
	s_waitcnt vmcnt(0)
	v_fma_f64 v[2:3], v[13:14], v[17:18], v[4:5]
	v_fma_f64 v[7:8], v[11:12], v[17:18], v[0:1]
	v_fma_f64 v[4:5], -v[13:14], v[17:18], v[4:5]
	v_fma_f64 v[9:10], v[11:12], v[17:18], -v[0:1]
	v_fma_f64 v[0:1], -v[11:12], v[15:16], v[2:3]
	v_fma_f64 v[2:3], v[13:14], v[15:16], v[7:8]
	v_fma_f64 v[7:8], v[11:12], v[15:16], v[4:5]
	;; [unrolled: 1-line block ×3, first 2 shown]
	ds_write_b128 v160, v[0:3] offset:3744
	ds_write_b128 v6, v[7:10] offset:4992
	s_waitcnt lgkmcnt(0)
	s_barrier
	buffer_gl0_inv
	s_barrier
	buffer_gl0_inv
	ds_read_b128 v[0:3], v83 offset:672
	ds_read_b128 v[8:11], v160
	ds_read_b128 v[4:7], v83 offset:624
	ds_read_b128 v[28:31], v83 offset:1296
	;; [unrolled: 1-line block ×14, first 2 shown]
	s_waitcnt lgkmcnt(14)
	v_add_f64 v[16:17], v[8:9], v[0:1]
	v_add_f64 v[18:19], v[10:11], v[2:3]
	s_waitcnt lgkmcnt(1)
	v_add_f64 v[122:123], v[50:51], v[58:59]
	v_add_f64 v[124:125], v[50:51], -v[58:59]
	v_add_f64 v[16:17], v[16:17], v[12:13]
	v_add_f64 v[18:19], v[18:19], v[14:15]
	;; [unrolled: 1-line block ×11, first 2 shown]
	v_add_f64 v[16:17], v[48:49], -v[56:57]
	v_add_f64 v[56:57], v[68:69], v[56:57]
	v_add_f64 v[58:59], v[70:71], v[58:59]
	ds_read_b128 v[48:51], v83 offset:5376
	ds_read_b128 v[68:71], v83 offset:6000
	s_waitcnt lgkmcnt(1)
	v_add_f64 v[108:109], v[44:45], v[48:49]
	v_add_f64 v[126:127], v[46:47], v[50:51]
	v_add_f64 v[106:107], v[44:45], -v[48:49]
	v_add_f64 v[128:129], v[46:47], -v[50:51]
	v_add_f64 v[48:49], v[56:57], v[48:49]
	v_add_f64 v[50:51], v[58:59], v[50:51]
	ds_read_b128 v[44:47], v83 offset:6048
	ds_read_b128 v[76:79], v83 offset:6672
	v_add_f64 v[56:57], v[52:53], -v[64:65]
	v_add_f64 v[58:59], v[54:55], -v[66:67]
	s_waitcnt lgkmcnt(1)
	v_add_f64 v[112:113], v[24:25], v[44:45]
	v_add_f64 v[130:131], v[26:27], v[46:47]
	v_add_f64 v[110:111], v[24:25], -v[44:45]
	v_add_f64 v[132:133], v[26:27], -v[46:47]
	v_add_f64 v[48:49], v[48:49], v[44:45]
	v_add_f64 v[50:51], v[50:51], v[46:47]
	ds_read_b128 v[24:27], v83 offset:6720
	ds_read_b128 v[44:47], v83 offset:7344
	s_waitcnt lgkmcnt(2)
	v_add_f64 v[72:73], v[40:41], -v[76:77]
	v_add_f64 v[74:75], v[42:43], -v[78:79]
	s_waitcnt lgkmcnt(1)
	v_add_f64 v[116:117], v[20:21], v[24:25]
	v_add_f64 v[134:135], v[22:23], v[26:27]
	v_add_f64 v[114:115], v[20:21], -v[24:25]
	v_add_f64 v[136:137], v[22:23], -v[26:27]
	ds_read_b128 v[20:23], v83 offset:7392
	ds_read_b128 v[98:101], v83 offset:8016
	v_add_f64 v[24:25], v[48:49], v[24:25]
	v_add_f64 v[26:27], v[50:51], v[26:27]
	s_waitcnt lgkmcnt(2)
	v_add_f64 v[92:93], v[36:37], -v[44:45]
	s_waitcnt lgkmcnt(1)
	v_add_f64 v[118:119], v[12:13], v[20:21]
	v_add_f64 v[138:139], v[14:15], v[22:23]
	v_add_f64 v[120:121], v[12:13], -v[20:21]
	v_add_f64 v[140:141], v[14:15], -v[22:23]
	ds_read_b128 v[12:15], v83 offset:8064
	ds_read_b128 v[142:145], v83 offset:8688
	v_add_f64 v[48:49], v[24:25], v[20:21]
	v_add_f64 v[50:51], v[26:27], v[22:23]
	s_waitcnt lgkmcnt(2)
	v_add_f64 v[90:91], v[34:35], v[100:101]
	v_add_f64 v[96:97], v[32:33], -v[98:99]
	v_add_f64 v[94:95], v[34:35], -v[100:101]
	s_waitcnt lgkmcnt(0)
	s_barrier
	buffer_gl0_inv
	v_add_f64 v[24:25], v[0:1], v[12:13]
	v_add_f64 v[22:23], v[2:3], v[14:15]
	v_add_f64 v[20:21], v[0:1], -v[12:13]
	v_add_f64 v[26:27], v[2:3], -v[14:15]
	v_add_f64 v[0:1], v[4:5], v[28:29]
	v_add_f64 v[2:3], v[6:7], v[30:31]
	;; [unrolled: 1-line block ×4, first 2 shown]
	v_add_f64 v[104:105], v[28:29], -v[142:143]
	v_add_f64 v[102:103], v[30:31], -v[144:145]
	v_add_f64 v[14:15], v[50:51], v[14:15]
	v_add_f64 v[50:51], v[54:55], v[66:67]
	v_mul_f64 v[146:147], v[22:23], s[16:17]
	v_mul_f64 v[148:149], v[22:23], s[26:27]
	;; [unrolled: 1-line block ×3, first 2 shown]
	v_add_f64 v[0:1], v[0:1], v[32:33]
	v_add_f64 v[2:3], v[2:3], v[34:35]
	v_mul_f64 v[34:35], v[26:27], s[30:31]
	v_fma_f64 v[156:157], v[20:21], s[28:29], v[146:147]
	v_fma_f64 v[163:164], v[20:21], s[36:37], v[148:149]
	v_fma_f64 v[148:149], v[20:21], s[30:31], v[148:149]
	v_add_f64 v[0:1], v[0:1], v[36:37]
	v_add_f64 v[2:3], v[2:3], v[38:39]
	v_fma_f64 v[146:147], v[20:21], s[38:39], v[146:147]
	v_fma_f64 v[165:166], v[20:21], s[34:35], v[150:151]
	;; [unrolled: 1-line block ×3, first 2 shown]
	v_add_f64 v[173:174], v[10:11], v[156:157]
	v_add_f64 v[163:164], v[10:11], v[163:164]
	v_add_f64 v[181:182], v[10:11], v[148:149]
	v_add_f64 v[0:1], v[0:1], v[40:41]
	v_add_f64 v[2:3], v[2:3], v[42:43]
	v_add_f64 v[177:178], v[10:11], v[146:147]
	v_add_f64 v[150:151], v[10:11], v[150:151]
	v_add_f64 v[0:1], v[0:1], v[60:61]
	v_add_f64 v[2:3], v[2:3], v[62:63]
	v_add_f64 v[0:1], v[0:1], v[52:53]
	v_add_f64 v[2:3], v[2:3], v[54:55]
	v_add_f64 v[52:53], v[60:61], v[68:69]
	v_add_f64 v[54:55], v[62:63], v[70:71]
	v_add_f64 v[0:1], v[0:1], v[64:65]
	v_add_f64 v[2:3], v[2:3], v[66:67]
	v_add_f64 v[64:65], v[60:61], -v[68:69]
	v_add_f64 v[60:61], v[40:41], v[76:77]
	v_add_f64 v[66:67], v[62:63], -v[70:71]
	v_add_f64 v[62:63], v[42:43], v[78:79]
	v_add_f64 v[0:1], v[0:1], v[68:69]
	;; [unrolled: 1-line block ×4, first 2 shown]
	v_mul_f64 v[36:37], v[26:27], s[14:15]
	v_add_f64 v[70:71], v[38:39], v[46:47]
	v_add_f64 v[0:1], v[0:1], v[76:77]
	;; [unrolled: 1-line block ×4, first 2 shown]
	v_mul_f64 v[32:33], v[26:27], s[38:39]
	v_add_f64 v[78:79], v[38:39], -v[46:47]
	v_add_f64 v[0:1], v[0:1], v[44:45]
	v_add_f64 v[2:3], v[2:3], v[46:47]
	v_fma_f64 v[44:45], v[24:25], s[26:27], v[34:35]
	v_fma_f64 v[42:43], v[24:25], s[16:17], v[32:33]
	v_fma_f64 v[32:33], v[24:25], s[16:17], -v[32:33]
	v_fma_f64 v[34:35], v[24:25], s[26:27], -v[34:35]
	v_fma_f64 v[46:47], v[24:25], s[6:7], v[36:37]
	v_fma_f64 v[36:37], v[24:25], s[6:7], -v[36:37]
	v_add_f64 v[0:1], v[0:1], v[98:99]
	v_add_f64 v[2:3], v[2:3], v[100:101]
	;; [unrolled: 1-line block ×4, first 2 shown]
	v_mul_f64 v[28:29], v[26:27], s[0:1]
	v_mul_f64 v[30:31], v[26:27], s[18:19]
	;; [unrolled: 1-line block ×3, first 2 shown]
	v_add_f64 v[42:43], v[8:9], v[42:43]
	v_add_f64 v[175:176], v[8:9], v[32:33]
	;; [unrolled: 1-line block ×5, first 2 shown]
	v_mul_f64 v[32:33], v[136:137], s[38:39]
	v_mul_f64 v[34:35], v[134:135], s[16:17]
	;; [unrolled: 1-line block ×3, first 2 shown]
	v_add_f64 v[0:1], v[0:1], v[142:143]
	v_add_f64 v[2:3], v[2:3], v[144:145]
	v_mul_f64 v[144:145], v[22:23], s[8:9]
	v_fma_f64 v[38:39], v[24:25], s[4:5], v[28:29]
	v_fma_f64 v[28:29], v[24:25], s[4:5], -v[28:29]
	v_fma_f64 v[40:41], v[24:25], s[8:9], v[30:31]
	v_fma_f64 v[30:31], v[24:25], s[8:9], -v[30:31]
	v_fma_f64 v[142:143], v[24:25], s[22:23], v[26:27]
	v_fma_f64 v[24:25], v[24:25], s[22:23], -v[26:27]
	v_mul_f64 v[26:27], v[22:23], s[4:5]
	v_mul_f64 v[22:23], v[22:23], s[22:23]
	v_fma_f64 v[154:155], v[20:21], s[40:41], v[144:145]
	v_fma_f64 v[144:145], v[20:21], s[18:19], v[144:145]
	v_add_f64 v[28:29], v[8:9], v[28:29]
	v_add_f64 v[40:41], v[8:9], v[40:41]
	;; [unrolled: 1-line block ×5, first 2 shown]
	v_fma_f64 v[152:153], v[20:21], s[20:21], v[26:27]
	v_fma_f64 v[26:27], v[20:21], s[0:1], v[26:27]
	;; [unrolled: 1-line block ×4, first 2 shown]
	v_add_f64 v[22:23], v[8:9], v[38:39]
	v_mul_f64 v[24:25], v[138:139], s[8:9]
	v_add_f64 v[169:170], v[10:11], v[154:155]
	v_add_f64 v[171:172], v[10:11], v[144:145]
	;; [unrolled: 1-line block ×3, first 2 shown]
	v_mul_f64 v[165:166], v[126:127], s[6:7]
	v_add_f64 v[38:39], v[10:11], v[152:153]
	v_add_f64 v[152:153], v[8:9], v[36:37]
	v_mul_f64 v[8:9], v[140:141], s[18:19]
	v_add_f64 v[26:27], v[10:11], v[26:27]
	v_add_f64 v[146:147], v[10:11], v[167:168]
	;; [unrolled: 1-line block ×3, first 2 shown]
	v_fma_f64 v[20:21], v[120:121], s[40:41], v[24:25]
	v_mul_f64 v[36:37], v[132:133], s[30:31]
	v_fma_f64 v[24:25], v[120:121], s[18:19], v[24:25]
	v_mul_f64 v[167:168], v[124:125], s[24:25]
	v_fma_f64 v[10:11], v[118:119], s[8:9], v[8:9]
	v_fma_f64 v[8:9], v[118:119], s[8:9], -v[8:9]
	v_add_f64 v[20:21], v[20:21], v[38:39]
	v_mul_f64 v[38:39], v[130:131], s[26:27]
	v_add_f64 v[24:25], v[24:25], v[26:27]
	v_fma_f64 v[26:27], v[116:117], s[16:17], -v[32:33]
	v_add_f64 v[10:11], v[10:11], v[22:23]
	v_fma_f64 v[22:23], v[116:117], s[16:17], v[32:33]
	v_add_f64 v[8:9], v[8:9], v[28:29]
	v_mul_f64 v[28:29], v[140:141], s[30:31]
	v_mul_f64 v[32:33], v[138:139], s[26:27]
	v_add_f64 v[10:11], v[22:23], v[10:11]
	v_fma_f64 v[22:23], v[114:115], s[28:29], v[34:35]
	v_add_f64 v[8:9], v[26:27], v[8:9]
	v_fma_f64 v[26:27], v[114:115], s[38:39], v[34:35]
	v_mul_f64 v[34:35], v[136:137], s[24:25]
	v_add_f64 v[20:21], v[22:23], v[20:21]
	v_fma_f64 v[22:23], v[112:113], s[26:27], v[36:37]
	v_add_f64 v[24:25], v[26:27], v[24:25]
	v_fma_f64 v[26:27], v[112:113], s[26:27], -v[36:37]
	v_fma_f64 v[36:37], v[116:117], s[22:23], v[34:35]
	v_add_f64 v[10:11], v[22:23], v[10:11]
	v_fma_f64 v[22:23], v[110:111], s[36:37], v[38:39]
	v_add_f64 v[8:9], v[26:27], v[8:9]
	;; [unrolled: 2-line block ×4, first 2 shown]
	v_fma_f64 v[26:27], v[108:109], s[6:7], -v[46:47]
	v_add_f64 v[10:11], v[22:23], v[10:11]
	v_fma_f64 v[22:23], v[106:107], s[34:35], v[165:166]
	v_add_f64 v[8:9], v[26:27], v[8:9]
	v_fma_f64 v[26:27], v[106:107], s[14:15], v[165:166]
	;; [unrolled: 2-line block ×3, first 2 shown]
	v_add_f64 v[24:25], v[26:27], v[24:25]
	v_fma_f64 v[26:27], v[18:19], s[22:23], -v[167:168]
	v_add_f64 v[20:21], v[20:21], v[10:11]
	v_mul_f64 v[10:11], v[122:123], s[22:23]
	v_add_f64 v[8:9], v[26:27], v[8:9]
	v_fma_f64 v[26:27], v[120:121], s[36:37], v[32:33]
	v_fma_f64 v[183:184], v[16:17], s[42:43], v[10:11]
	v_fma_f64 v[10:11], v[16:17], s[24:25], v[10:11]
	v_add_f64 v[26:27], v[26:27], v[169:170]
	v_add_f64 v[22:23], v[183:184], v[22:23]
	;; [unrolled: 1-line block ×3, first 2 shown]
	v_fma_f64 v[24:25], v[118:119], s[26:27], v[28:29]
	v_fma_f64 v[28:29], v[118:119], s[26:27], -v[28:29]
	v_add_f64 v[24:25], v[24:25], v[40:41]
	v_add_f64 v[28:29], v[28:29], v[30:31]
	v_fma_f64 v[30:31], v[120:121], s[30:31], v[32:33]
	v_fma_f64 v[32:33], v[116:117], s[22:23], -v[34:35]
	v_add_f64 v[24:25], v[36:37], v[24:25]
	v_mul_f64 v[36:37], v[134:135], s[22:23]
	v_add_f64 v[30:31], v[30:31], v[171:172]
	v_add_f64 v[28:29], v[32:33], v[28:29]
	v_fma_f64 v[38:39], v[114:115], s[42:43], v[36:37]
	v_fma_f64 v[32:33], v[114:115], s[24:25], v[36:37]
	v_mul_f64 v[36:37], v[140:141], s[24:25]
	v_add_f64 v[26:27], v[38:39], v[26:27]
	v_mul_f64 v[38:39], v[132:133], s[34:35]
	v_add_f64 v[30:31], v[32:33], v[30:31]
	v_fma_f64 v[40:41], v[112:113], s[6:7], v[38:39]
	v_fma_f64 v[32:33], v[112:113], s[6:7], -v[38:39]
	v_mul_f64 v[38:39], v[138:139], s[22:23]
	v_add_f64 v[24:25], v[40:41], v[24:25]
	v_mul_f64 v[40:41], v[130:131], s[6:7]
	v_add_f64 v[28:29], v[32:33], v[28:29]
	v_fma_f64 v[46:47], v[110:111], s[14:15], v[40:41]
	v_fma_f64 v[32:33], v[110:111], s[34:35], v[40:41]
	v_mul_f64 v[40:41], v[136:137], s[36:37]
	v_add_f64 v[26:27], v[46:47], v[26:27]
	v_mul_f64 v[46:47], v[128:129], s[28:29]
	v_add_f64 v[30:31], v[32:33], v[30:31]
	v_fma_f64 v[165:166], v[108:109], s[16:17], v[46:47]
	v_fma_f64 v[32:33], v[108:109], s[16:17], -v[46:47]
	v_add_f64 v[24:25], v[165:166], v[24:25]
	v_mul_f64 v[165:166], v[126:127], s[16:17]
	v_add_f64 v[28:29], v[32:33], v[28:29]
	v_fma_f64 v[167:168], v[106:107], s[38:39], v[165:166]
	v_fma_f64 v[32:33], v[106:107], s[28:29], v[165:166]
	v_add_f64 v[26:27], v[167:168], v[26:27]
	v_mul_f64 v[167:168], v[124:125], s[20:21]
	v_add_f64 v[30:31], v[32:33], v[30:31]
	v_fma_f64 v[169:170], v[18:19], s[4:5], v[167:168]
	v_fma_f64 v[32:33], v[18:19], s[4:5], -v[167:168]
	v_add_f64 v[24:25], v[169:170], v[24:25]
	v_mul_f64 v[169:170], v[122:123], s[4:5]
	v_add_f64 v[28:29], v[32:33], v[28:29]
	v_fma_f64 v[32:33], v[118:119], s[22:23], v[36:37]
	v_fma_f64 v[36:37], v[118:119], s[22:23], -v[36:37]
	v_fma_f64 v[34:35], v[16:17], s[20:21], v[169:170]
	v_fma_f64 v[183:184], v[16:17], s[0:1], v[169:170]
	v_add_f64 v[32:33], v[32:33], v[42:43]
	v_fma_f64 v[42:43], v[116:117], s[26:27], v[40:41]
	v_add_f64 v[36:37], v[36:37], v[175:176]
	v_fma_f64 v[40:41], v[116:117], s[26:27], -v[40:41]
	v_add_f64 v[30:31], v[34:35], v[30:31]
	v_fma_f64 v[34:35], v[120:121], s[42:43], v[38:39]
	v_fma_f64 v[38:39], v[120:121], s[24:25], v[38:39]
	v_add_f64 v[32:33], v[42:43], v[32:33]
	v_mul_f64 v[42:43], v[134:135], s[26:27]
	v_add_f64 v[36:37], v[40:41], v[36:37]
	v_add_f64 v[26:27], v[183:184], v[26:27]
	;; [unrolled: 1-line block ×4, first 2 shown]
	v_fma_f64 v[46:47], v[114:115], s[30:31], v[42:43]
	v_fma_f64 v[40:41], v[114:115], s[36:37], v[42:43]
	v_add_f64 v[34:35], v[46:47], v[34:35]
	v_mul_f64 v[46:47], v[132:133], s[20:21]
	v_add_f64 v[38:39], v[40:41], v[38:39]
	v_fma_f64 v[165:166], v[112:113], s[4:5], v[46:47]
	v_fma_f64 v[40:41], v[112:113], s[4:5], -v[46:47]
	v_mul_f64 v[46:47], v[140:141], s[34:35]
	v_add_f64 v[32:33], v[165:166], v[32:33]
	v_mul_f64 v[165:166], v[130:131], s[4:5]
	v_add_f64 v[36:37], v[40:41], v[36:37]
	v_fma_f64 v[167:168], v[110:111], s[0:1], v[165:166]
	v_fma_f64 v[40:41], v[110:111], s[20:21], v[165:166]
	v_add_f64 v[34:35], v[167:168], v[34:35]
	v_mul_f64 v[167:168], v[128:129], s[18:19]
	v_add_f64 v[38:39], v[40:41], v[38:39]
	v_fma_f64 v[169:170], v[108:109], s[8:9], v[167:168]
	v_fma_f64 v[40:41], v[108:109], s[8:9], -v[167:168]
	v_add_f64 v[32:33], v[169:170], v[32:33]
	v_mul_f64 v[169:170], v[126:127], s[8:9]
	v_add_f64 v[36:37], v[40:41], v[36:37]
	v_fma_f64 v[171:172], v[106:107], s[40:41], v[169:170]
	v_fma_f64 v[40:41], v[106:107], s[18:19], v[169:170]
	v_add_f64 v[34:35], v[171:172], v[34:35]
	v_mul_f64 v[171:172], v[124:125], s[14:15]
	v_add_f64 v[38:39], v[40:41], v[38:39]
	v_fma_f64 v[173:174], v[18:19], s[6:7], v[171:172]
	v_fma_f64 v[40:41], v[18:19], s[6:7], -v[171:172]
	v_add_f64 v[32:33], v[173:174], v[32:33]
	v_mul_f64 v[173:174], v[122:123], s[6:7]
	v_add_f64 v[36:37], v[40:41], v[36:37]
	v_fma_f64 v[40:41], v[118:119], s[6:7], v[46:47]
	v_fma_f64 v[46:47], v[118:119], s[6:7], -v[46:47]
	v_fma_f64 v[42:43], v[16:17], s[14:15], v[173:174]
	v_fma_f64 v[183:184], v[16:17], s[34:35], v[173:174]
	v_add_f64 v[40:41], v[40:41], v[44:45]
	v_mul_f64 v[44:45], v[138:139], s[6:7]
	v_add_f64 v[46:47], v[46:47], v[179:180]
	v_add_f64 v[38:39], v[42:43], v[38:39]
	;; [unrolled: 1-line block ×3, first 2 shown]
	v_fma_f64 v[42:43], v[120:121], s[14:15], v[44:45]
	v_fma_f64 v[44:45], v[120:121], s[34:35], v[44:45]
	v_add_f64 v[42:43], v[42:43], v[163:164]
	v_mul_f64 v[163:164], v[136:137], s[20:21]
	v_add_f64 v[44:45], v[44:45], v[181:182]
	v_mul_f64 v[181:182], v[124:125], s[30:31]
	v_fma_f64 v[165:166], v[116:117], s[4:5], v[163:164]
	v_fma_f64 v[163:164], v[116:117], s[4:5], -v[163:164]
	v_add_f64 v[40:41], v[165:166], v[40:41]
	v_mul_f64 v[165:166], v[134:135], s[4:5]
	v_add_f64 v[46:47], v[163:164], v[46:47]
	v_fma_f64 v[167:168], v[114:115], s[0:1], v[165:166]
	v_fma_f64 v[163:164], v[114:115], s[20:21], v[165:166]
	v_add_f64 v[42:43], v[167:168], v[42:43]
	v_mul_f64 v[167:168], v[132:133], s[38:39]
	v_add_f64 v[44:45], v[163:164], v[44:45]
	v_fma_f64 v[169:170], v[112:113], s[16:17], v[167:168]
	v_fma_f64 v[163:164], v[112:113], s[16:17], -v[167:168]
	v_add_f64 v[40:41], v[169:170], v[40:41]
	v_mul_f64 v[169:170], v[130:131], s[16:17]
	v_add_f64 v[46:47], v[163:164], v[46:47]
	v_fma_f64 v[171:172], v[110:111], s[28:29], v[169:170]
	v_fma_f64 v[163:164], v[110:111], s[38:39], v[169:170]
	v_add_f64 v[42:43], v[171:172], v[42:43]
	v_mul_f64 v[171:172], v[128:129], s[42:43]
	v_add_f64 v[44:45], v[163:164], v[44:45]
	v_fma_f64 v[173:174], v[108:109], s[22:23], v[171:172]
	v_fma_f64 v[163:164], v[108:109], s[22:23], -v[171:172]
	v_add_f64 v[40:41], v[173:174], v[40:41]
	v_mul_f64 v[173:174], v[126:127], s[22:23]
	v_add_f64 v[46:47], v[163:164], v[46:47]
	v_fma_f64 v[175:176], v[106:107], s[24:25], v[173:174]
	v_fma_f64 v[163:164], v[106:107], s[42:43], v[173:174]
	v_add_f64 v[42:43], v[175:176], v[42:43]
	v_mul_f64 v[175:176], v[124:125], s[40:41]
	v_add_f64 v[163:164], v[163:164], v[44:45]
	v_mul_f64 v[124:125], v[124:125], s[28:29]
	v_fma_f64 v[177:178], v[18:19], s[8:9], v[175:176]
	v_fma_f64 v[44:45], v[18:19], s[8:9], -v[175:176]
	v_add_f64 v[40:41], v[177:178], v[40:41]
	v_mul_f64 v[177:178], v[122:123], s[8:9]
	v_add_f64 v[44:45], v[44:45], v[46:47]
	v_fma_f64 v[165:166], v[16:17], s[40:41], v[177:178]
	v_fma_f64 v[183:184], v[16:17], s[18:19], v[177:178]
	v_add_f64 v[46:47], v[165:166], v[163:164]
	v_mul_f64 v[163:164], v[140:141], s[28:29]
	v_add_f64 v[42:43], v[183:184], v[42:43]
	v_mul_f64 v[183:184], v[122:123], s[26:27]
	v_mul_f64 v[140:141], v[140:141], s[20:21]
	;; [unrolled: 1-line block ×3, first 2 shown]
	v_fma_f64 v[165:166], v[118:119], s[16:17], v[163:164]
	v_fma_f64 v[163:164], v[118:119], s[16:17], -v[163:164]
	v_add_f64 v[156:157], v[165:166], v[156:157]
	v_mul_f64 v[165:166], v[138:139], s[16:17]
	v_add_f64 v[152:153], v[163:164], v[152:153]
	v_mul_f64 v[138:139], v[138:139], s[4:5]
	v_fma_f64 v[167:168], v[120:121], s[38:39], v[165:166]
	v_fma_f64 v[163:164], v[120:121], s[28:29], v[165:166]
	;; [unrolled: 1-line block ×3, first 2 shown]
	v_add_f64 v[154:155], v[167:168], v[154:155]
	v_mul_f64 v[167:168], v[136:137], s[18:19]
	v_add_f64 v[150:151], v[163:164], v[150:151]
	v_mul_f64 v[136:137], v[136:137], s[14:15]
	v_fma_f64 v[169:170], v[116:117], s[8:9], v[167:168]
	v_fma_f64 v[163:164], v[116:117], s[8:9], -v[167:168]
	v_add_f64 v[156:157], v[169:170], v[156:157]
	v_mul_f64 v[169:170], v[134:135], s[8:9]
	v_add_f64 v[152:153], v[163:164], v[152:153]
	v_mul_f64 v[134:135], v[134:135], s[6:7]
	v_fma_f64 v[171:172], v[114:115], s[40:41], v[169:170]
	v_fma_f64 v[163:164], v[114:115], s[18:19], v[169:170]
	v_add_f64 v[154:155], v[171:172], v[154:155]
	v_mul_f64 v[171:172], v[132:133], s[42:43]
	v_add_f64 v[150:151], v[163:164], v[150:151]
	v_fma_f64 v[173:174], v[112:113], s[22:23], v[171:172]
	v_fma_f64 v[163:164], v[112:113], s[22:23], -v[171:172]
	v_add_f64 v[156:157], v[173:174], v[156:157]
	v_mul_f64 v[173:174], v[130:131], s[22:23]
	v_add_f64 v[152:153], v[163:164], v[152:153]
	v_fma_f64 v[175:176], v[110:111], s[24:25], v[173:174]
	v_fma_f64 v[163:164], v[110:111], s[42:43], v[173:174]
	v_add_f64 v[154:155], v[175:176], v[154:155]
	v_mul_f64 v[175:176], v[128:129], s[20:21]
	v_add_f64 v[150:151], v[163:164], v[150:151]
	v_mul_f64 v[128:129], v[128:129], s[30:31]
	v_fma_f64 v[177:178], v[108:109], s[4:5], v[175:176]
	v_fma_f64 v[163:164], v[108:109], s[4:5], -v[175:176]
	v_add_f64 v[156:157], v[177:178], v[156:157]
	v_mul_f64 v[177:178], v[126:127], s[4:5]
	v_add_f64 v[152:153], v[163:164], v[152:153]
	v_mul_f64 v[126:127], v[126:127], s[26:27]
	v_fma_f64 v[163:164], v[106:107], s[20:21], v[177:178]
	v_fma_f64 v[179:180], v[106:107], s[0:1], v[177:178]
	v_add_f64 v[163:164], v[163:164], v[150:151]
	v_fma_f64 v[150:151], v[18:19], s[26:27], -v[181:182]
	v_add_f64 v[179:180], v[179:180], v[154:155]
	v_fma_f64 v[154:155], v[18:19], s[26:27], v[181:182]
	v_add_f64 v[150:151], v[150:151], v[152:153]
	v_add_f64 v[152:153], v[165:166], v[163:164]
	v_fma_f64 v[163:164], v[118:119], s[4:5], v[140:141]
	v_fma_f64 v[118:119], v[118:119], s[4:5], -v[140:141]
	v_add_f64 v[154:155], v[154:155], v[156:157]
	v_fma_f64 v[156:157], v[16:17], s[36:37], v[183:184]
	v_add_f64 v[148:149], v[163:164], v[148:149]
	v_fma_f64 v[163:164], v[120:121], s[0:1], v[138:139]
	v_fma_f64 v[120:121], v[120:121], s[20:21], v[138:139]
	v_add_f64 v[118:119], v[118:119], v[142:143]
	v_add_f64 v[156:157], v[156:157], v[179:180]
	;; [unrolled: 1-line block ×3, first 2 shown]
	v_fma_f64 v[163:164], v[116:117], s[6:7], v[136:137]
	v_fma_f64 v[116:117], v[116:117], s[6:7], -v[136:137]
	v_add_f64 v[120:121], v[120:121], v[144:145]
	v_add_f64 v[148:149], v[163:164], v[148:149]
	v_fma_f64 v[163:164], v[114:115], s[34:35], v[134:135]
	v_fma_f64 v[114:115], v[114:115], s[14:15], v[134:135]
	v_add_f64 v[116:117], v[116:117], v[118:119]
	v_mul_f64 v[118:119], v[64:65], s[14:15]
	v_add_f64 v[146:147], v[163:164], v[146:147]
	v_mul_f64 v[163:164], v[132:133], s[40:41]
	v_add_f64 v[114:115], v[114:115], v[120:121]
	v_mul_f64 v[120:121], v[92:93], s[38:39]
	v_fma_f64 v[132:133], v[112:113], s[8:9], v[163:164]
	v_fma_f64 v[112:113], v[112:113], s[8:9], -v[163:164]
	v_add_f64 v[132:133], v[132:133], v[148:149]
	v_mul_f64 v[148:149], v[130:131], s[8:9]
	v_add_f64 v[112:113], v[112:113], v[116:117]
	v_mul_f64 v[116:117], v[78:79], s[38:39]
	v_fma_f64 v[130:131], v[110:111], s[18:19], v[148:149]
	v_fma_f64 v[110:111], v[110:111], s[40:41], v[148:149]
	v_add_f64 v[130:131], v[130:131], v[146:147]
	v_fma_f64 v[146:147], v[108:109], s[26:27], v[128:129]
	v_fma_f64 v[108:109], v[108:109], s[26:27], -v[128:129]
	v_add_f64 v[110:111], v[110:111], v[114:115]
	v_mul_f64 v[128:129], v[104:105], s[0:1]
	v_mul_f64 v[114:115], v[96:97], s[18:19]
	v_add_f64 v[132:133], v[146:147], v[132:133]
	v_fma_f64 v[146:147], v[106:107], s[36:37], v[126:127]
	v_fma_f64 v[106:107], v[106:107], s[30:31], v[126:127]
	v_add_f64 v[108:109], v[108:109], v[112:113]
	v_mul_f64 v[126:127], v[102:103], s[0:1]
	v_mul_f64 v[112:113], v[66:67], s[14:15]
	s_mov_b32 s1, exec_lo
	v_add_f64 v[146:147], v[146:147], v[130:131]
	v_fma_f64 v[130:131], v[18:19], s[16:17], v[124:125]
	v_fma_f64 v[18:19], v[18:19], s[16:17], -v[124:125]
	v_add_f64 v[106:107], v[106:107], v[110:111]
	v_mul_f64 v[124:125], v[72:73], s[30:31]
	v_add_f64 v[130:131], v[130:131], v[132:133]
	v_fma_f64 v[132:133], v[16:17], s[38:39], v[122:123]
	v_fma_f64 v[16:17], v[16:17], s[28:29], v[122:123]
	v_add_f64 v[134:135], v[18:19], v[108:109]
	v_mul_f64 v[108:109], v[94:95], s[18:19]
	v_mul_f64 v[122:123], v[74:75], s[30:31]
	v_add_f64 v[132:133], v[132:133], v[146:147]
	v_add_f64 v[136:137], v[16:17], v[106:107]
	v_fma_f64 v[16:17], v[98:99], s[4:5], v[126:127]
	v_fma_f64 v[18:19], v[76:77], s[8:9], v[108:109]
	v_fma_f64 v[106:107], v[90:91], s[8:9], -v[114:115]
	v_add_f64 v[16:17], v[4:5], v[16:17]
	v_add_f64 v[16:17], v[18:19], v[16:17]
	v_fma_f64 v[18:19], v[100:101], s[4:5], -v[128:129]
	v_add_f64 v[18:19], v[6:7], v[18:19]
	v_add_f64 v[18:19], v[106:107], v[18:19]
	v_fma_f64 v[106:107], v[68:69], s[16:17], v[116:117]
	v_add_f64 v[16:17], v[106:107], v[16:17]
	v_fma_f64 v[106:107], v[70:71], s[16:17], -v[120:121]
	v_add_f64 v[18:19], v[106:107], v[18:19]
	v_fma_f64 v[106:107], v[60:61], s[26:27], v[122:123]
	v_add_f64 v[16:17], v[106:107], v[16:17]
	v_fma_f64 v[106:107], v[62:63], s[26:27], -v[124:125]
	v_add_f64 v[18:19], v[106:107], v[18:19]
	v_fma_f64 v[106:107], v[52:53], s[6:7], v[112:113]
	v_add_f64 v[16:17], v[106:107], v[16:17]
	v_fma_f64 v[106:107], v[54:55], s[6:7], -v[118:119]
	v_add_f64 v[18:19], v[106:107], v[18:19]
	v_mul_f64 v[106:107], v[58:59], s[24:25]
	v_fma_f64 v[110:111], v[48:49], s[22:23], v[106:107]
	v_add_f64 v[16:17], v[110:111], v[16:17]
	v_mul_f64 v[110:111], v[56:57], s[24:25]
	v_fma_f64 v[138:139], v[50:51], s[22:23], -v[110:111]
	v_add_f64 v[18:19], v[138:139], v[18:19]
	v_mul_u32_u24_e32 v138, 0xd0, v82
	v_add3_u32 v138, 0, v138, v162
	ds_write_b128 v138, v[20:23] offset:16
	ds_write_b128 v138, v[24:27] offset:32
	ds_write_b128 v138, v[32:35] offset:48
	ds_write_b128 v138, v[40:43] offset:64
	ds_write_b128 v138, v[154:157] offset:80
	ds_write_b128 v138, v[130:133] offset:96
	ds_write_b128 v138, v[134:137] offset:112
	ds_write_b128 v138, v[150:153] offset:128
	ds_write_b128 v138, v[44:47] offset:144
	ds_write_b128 v138, v[36:39] offset:160
	ds_write_b128 v138, v[28:31] offset:176
	ds_write_b128 v138, v[12:15]
	ds_write_b128 v138, v[8:11] offset:192
	v_add_nc_u32_e32 v130, 39, v82
	v_cmpx_gt_u32_e32 3, v82
	s_cbranch_execz .LBB0_20
; %bb.19:
	v_mul_f64 v[40:41], v[104:105], s[24:25]
	v_mul_f64 v[42:43], v[102:103], s[24:25]
	;; [unrolled: 1-line block ×22, first 2 shown]
	v_fma_f64 v[139:140], v[100:101], s[22:23], v[40:41]
	v_fma_f64 v[40:41], v[100:101], s[22:23], -v[40:41]
	v_fma_f64 v[141:142], v[98:99], s[22:23], -v[42:43]
	v_fma_f64 v[42:43], v[98:99], s[22:23], v[42:43]
	v_fma_f64 v[179:180], v[90:91], s[4:5], v[131:132]
	v_fma_f64 v[131:132], v[90:91], s[4:5], -v[131:132]
	v_fma_f64 v[181:182], v[76:77], s[4:5], -v[133:134]
	v_fma_f64 v[193:194], v[100:101], s[6:7], v[44:45]
	v_fma_f64 v[203:204], v[98:99], s[6:7], -v[46:47]
	v_fma_f64 v[44:45], v[100:101], s[6:7], -v[44:45]
	v_fma_f64 v[46:47], v[98:99], s[6:7], v[46:47]
	v_fma_f64 v[133:134], v[76:77], s[4:5], v[133:134]
	;; [unrolled: 1-line block ×4, first 2 shown]
	v_fma_f64 v[145:146], v[70:71], s[6:7], -v[145:146]
	v_fma_f64 v[209:210], v[68:69], s[6:7], -v[167:168]
	;; [unrolled: 1-line block ×3, first 2 shown]
	v_fma_f64 v[211:212], v[90:91], s[6:7], v[173:174]
	v_fma_f64 v[213:214], v[76:77], s[6:7], -v[175:176]
	v_fma_f64 v[167:168], v[68:69], s[6:7], v[167:168]
	v_mul_f64 v[195:196], v[74:75], s[42:43]
	v_mul_f64 v[199:200], v[72:73], s[38:39]
	v_add_f64 v[139:140], v[6:7], v[139:140]
	v_add_f64 v[40:41], v[6:7], v[40:41]
	;; [unrolled: 1-line block ×4, first 2 shown]
	v_mul_f64 v[201:202], v[74:75], s[38:39]
	v_fma_f64 v[173:174], v[90:91], s[6:7], -v[173:174]
	v_fma_f64 v[215:216], v[62:63], s[8:9], v[143:144]
	v_add_f64 v[193:194], v[6:7], v[193:194]
	v_add_f64 v[203:204], v[4:5], v[203:204]
	;; [unrolled: 1-line block ×4, first 2 shown]
	v_mul_f64 v[171:172], v[64:65], s[20:21]
	v_mul_f64 v[197:198], v[64:65], s[42:43]
	v_fma_f64 v[217:218], v[60:61], s[8:9], -v[165:166]
	v_fma_f64 v[165:166], v[60:61], s[8:9], v[165:166]
	v_mul_f64 v[36:37], v[98:99], s[4:5]
	v_add_f64 v[151:152], v[6:7], v[151:152]
	v_mul_f64 v[38:39], v[100:101], s[4:5]
	v_mul_f64 v[149:150], v[66:67], s[30:31]
	;; [unrolled: 1-line block ×5, first 2 shown]
	v_add_f64 v[139:140], v[179:180], v[139:140]
	v_add_f64 v[40:41], v[131:132], v[40:41]
	v_fma_f64 v[179:180], v[98:99], s[26:27], -v[155:156]
	v_add_f64 v[141:142], v[181:182], v[141:142]
	v_fma_f64 v[131:132], v[90:91], s[16:17], v[153:154]
	v_fma_f64 v[181:182], v[76:77], s[16:17], -v[163:164]
	v_fma_f64 v[153:154], v[90:91], s[16:17], -v[153:154]
	v_fma_f64 v[163:164], v[76:77], s[16:17], v[163:164]
	v_add_f64 v[42:43], v[133:134], v[42:43]
	v_fma_f64 v[133:134], v[62:63], s[8:9], -v[143:144]
	v_fma_f64 v[143:144], v[70:71], s[8:9], v[183:184]
	v_fma_f64 v[183:184], v[70:71], s[8:9], -v[183:184]
	v_fma_f64 v[155:156], v[98:99], s[26:27], v[155:156]
	v_mul_f64 v[14:15], v[68:69], s[16:17]
	v_mul_f64 v[20:21], v[70:71], s[16:17]
	v_add_f64 v[36:37], v[36:37], -v[126:127]
	v_add_f64 v[151:152], v[173:174], v[151:152]
	v_add_f64 v[38:39], v[128:129], v[38:39]
	v_mul_f64 v[169:170], v[56:57], s[30:31]
	v_mul_f64 v[12:13], v[60:61], s[26:27]
	v_add_f64 v[24:25], v[24:25], -v[108:109]
	v_add_f64 v[28:29], v[114:115], v[28:29]
	v_add_f64 v[139:140], v[207:208], v[139:140]
	;; [unrolled: 1-line block ×5, first 2 shown]
	v_fma_f64 v[205:206], v[68:69], s[8:9], -v[185:186]
	v_fma_f64 v[185:186], v[68:69], s[8:9], v[185:186]
	v_add_f64 v[131:132], v[131:132], v[193:194]
	v_add_f64 v[181:182], v[181:182], v[203:204]
	v_fma_f64 v[203:204], v[70:71], s[4:5], v[189:190]
	v_add_f64 v[42:43], v[167:168], v[42:43]
	v_fma_f64 v[167:168], v[68:69], s[4:5], -v[191:192]
	v_add_f64 v[44:45], v[153:154], v[44:45]
	v_add_f64 v[46:47], v[163:164], v[46:47]
	v_fma_f64 v[193:194], v[54:55], s[26:27], v[137:138]
	v_fma_f64 v[137:138], v[54:55], s[26:27], -v[137:138]
	v_fma_f64 v[153:154], v[62:63], s[22:23], v[177:178]
	v_fma_f64 v[163:164], v[70:71], s[4:5], -v[189:190]
	v_fma_f64 v[189:190], v[60:61], s[22:23], -v[195:196]
	v_add_f64 v[155:156], v[4:5], v[155:156]
	v_fma_f64 v[177:178], v[62:63], s[22:23], -v[177:178]
	v_fma_f64 v[191:192], v[68:69], s[4:5], v[191:192]
	v_fma_f64 v[207:208], v[52:53], s[26:27], -v[149:150]
	v_add_f64 v[139:140], v[215:216], v[139:140]
	v_add_f64 v[40:41], v[133:134], v[40:41]
	;; [unrolled: 1-line block ×4, first 2 shown]
	v_fma_f64 v[149:150], v[52:53], s[26:27], v[149:150]
	v_mul_f64 v[30:31], v[62:63], s[26:27]
	v_add_f64 v[131:132], v[143:144], v[131:132]
	v_fma_f64 v[143:144], v[76:77], s[6:7], v[175:176]
	v_add_f64 v[173:174], v[205:206], v[181:182]
	v_fma_f64 v[181:182], v[62:63], s[16:17], v[199:200]
	v_add_f64 v[42:43], v[165:166], v[42:43]
	v_add_f64 v[44:45], v[183:184], v[44:45]
	;; [unrolled: 1-line block ×3, first 2 shown]
	v_mul_f64 v[183:184], v[66:67], s[42:43]
	v_fma_f64 v[185:186], v[60:61], s[16:17], -v[201:202]
	v_fma_f64 v[165:166], v[60:61], s[22:23], v[195:196]
	v_add_f64 v[151:152], v[163:164], v[151:152]
	v_fma_f64 v[163:164], v[52:53], s[4:5], -v[187:188]
	v_add_f64 v[20:21], v[120:121], v[20:21]
	v_add_f64 v[14:15], v[14:15], -v[116:117]
	v_add_f64 v[141:142], v[209:210], v[141:142]
	v_mul_f64 v[32:33], v[52:53], s[6:7]
	v_add_f64 v[139:140], v[193:194], v[139:140]
	v_add_f64 v[40:41], v[137:138], v[40:41]
	;; [unrolled: 1-line block ×4, first 2 shown]
	v_fma_f64 v[137:138], v[54:55], s[4:5], v[171:172]
	v_fma_f64 v[179:180], v[62:63], s[16:17], -v[199:200]
	v_add_f64 v[131:132], v[153:154], v[131:132]
	v_add_f64 v[143:144], v[143:144], v[155:156]
	;; [unrolled: 1-line block ×3, first 2 shown]
	v_mul_f64 v[193:194], v[102:103], s[38:39]
	v_mul_f64 v[102:103], v[102:103], s[18:19]
	v_add_f64 v[44:45], v[177:178], v[44:45]
	v_fma_f64 v[177:178], v[54:55], s[22:23], v[197:198]
	v_fma_f64 v[189:190], v[52:53], s[22:23], -v[183:184]
	v_fma_f64 v[173:174], v[52:53], s[4:5], v[187:188]
	v_add_f64 v[46:47], v[165:166], v[46:47]
	v_mul_f64 v[165:166], v[56:57], s[40:41]
	v_mul_f64 v[153:154], v[58:59], s[30:31]
	v_add_f64 v[42:43], v[149:150], v[42:43]
	v_fma_f64 v[149:150], v[54:55], s[4:5], -v[171:172]
	v_fma_f64 v[171:172], v[50:51], s[26:27], v[169:170]
	v_mul_f64 v[34:35], v[54:55], s[6:7]
	v_add_f64 v[30:31], v[124:125], v[30:31]
	v_add_f64 v[12:13], v[12:13], -v[122:123]
	v_add_f64 v[133:134], v[181:182], v[133:134]
	v_mul_f64 v[181:182], v[104:105], s[38:39]
	v_add_f64 v[167:168], v[185:186], v[167:168]
	v_mul_f64 v[104:105], v[104:105], s[18:19]
	v_add_f64 v[131:132], v[137:138], v[131:132]
	v_fma_f64 v[137:138], v[54:55], s[22:23], -v[197:198]
	v_add_f64 v[151:152], v[179:180], v[151:152]
	v_fma_f64 v[185:186], v[60:61], s[16:17], v[201:202]
	v_add_f64 v[143:144], v[191:192], v[143:144]
	v_mul_f64 v[191:192], v[96:97], s[24:25]
	v_fma_f64 v[197:198], v[98:99], s[16:17], -v[193:194]
	v_fma_f64 v[193:194], v[98:99], s[16:17], v[193:194]
	v_mul_f64 v[96:97], v[96:97], s[30:31]
	v_add_f64 v[46:47], v[173:174], v[46:47]
	v_fma_f64 v[173:174], v[50:51], s[8:9], v[165:166]
	v_fma_f64 v[126:127], v[50:51], s[8:9], -v[165:166]
	v_fma_f64 v[179:180], v[48:49], s[26:27], -v[153:154]
	v_add_f64 v[44:45], v[149:150], v[44:45]
	v_fma_f64 v[149:150], v[48:49], s[26:27], v[153:154]
	v_mul_f64 v[153:154], v[72:73], s[20:21]
	v_mul_f64 v[72:73], v[72:73], s[34:35]
	v_add_f64 v[155:156], v[163:164], v[155:156]
	v_add_f64 v[133:134], v[177:178], v[133:134]
	v_fma_f64 v[195:196], v[100:101], s[16:17], v[181:182]
	v_mul_f64 v[177:178], v[94:95], s[24:25]
	v_add_f64 v[167:168], v[189:190], v[167:168]
	v_fma_f64 v[181:182], v[100:101], s[16:17], -v[181:182]
	v_fma_f64 v[189:190], v[100:101], s[8:9], -v[104:105]
	v_fma_f64 v[100:101], v[100:101], s[8:9], v[104:105]
	v_fma_f64 v[104:105], v[98:99], s[8:9], v[102:103]
	v_fma_f64 v[98:99], v[98:99], s[8:9], -v[102:103]
	v_mul_f64 v[94:95], v[94:95], s[30:31]
	v_add_f64 v[128:129], v[137:138], v[151:152]
	v_fma_f64 v[137:138], v[52:53], s[22:23], v[183:184]
	v_add_f64 v[143:144], v[185:186], v[143:144]
	v_mul_f64 v[151:152], v[92:93], s[36:37]
	v_fma_f64 v[165:166], v[90:91], s[22:23], v[191:192]
	v_mul_f64 v[185:186], v[78:79], s[36:37]
	v_add_f64 v[197:198], v[4:5], v[197:198]
	v_fma_f64 v[191:192], v[90:91], s[22:23], -v[191:192]
	v_mul_f64 v[92:93], v[92:93], s[24:25]
	v_add_f64 v[193:194], v[4:5], v[193:194]
	v_fma_f64 v[163:164], v[50:51], s[26:27], -v[169:170]
	v_mul_f64 v[169:170], v[64:65], s[18:19]
	v_fma_f64 v[114:115], v[62:63], s[4:5], v[153:154]
	v_add_f64 v[183:184], v[6:7], v[195:196]
	v_fma_f64 v[195:196], v[76:77], s[22:23], -v[177:178]
	v_fma_f64 v[177:178], v[76:77], s[22:23], v[177:178]
	v_add_f64 v[181:182], v[6:7], v[181:182]
	v_add_f64 v[189:190], v[6:7], v[189:190]
	;; [unrolled: 1-line block ×7, first 2 shown]
	v_fma_f64 v[36:37], v[90:91], s[26:27], -v[96:97]
	v_mul_f64 v[38:39], v[78:79], s[24:25]
	v_fma_f64 v[78:79], v[76:77], s[26:27], v[94:95]
	v_fma_f64 v[90:91], v[90:91], s[26:27], v[96:97]
	v_fma_f64 v[76:77], v[76:77], s[26:27], -v[94:95]
	v_fma_f64 v[108:109], v[70:71], s[26:27], v[151:152]
	v_fma_f64 v[151:152], v[70:71], s[26:27], -v[151:152]
	v_mul_f64 v[64:65], v[64:65], s[28:29]
	v_fma_f64 v[116:117], v[62:63], s[6:7], -v[72:73]
	v_mul_f64 v[135:136], v[56:57], s[28:29]
	v_mul_f64 v[147:148], v[58:59], s[28:29]
	v_mul_f64 v[187:188], v[58:59], s[40:41]
	v_add_f64 v[165:166], v[165:166], v[183:184]
	v_mul_f64 v[183:184], v[74:75], s[20:21]
	v_add_f64 v[195:196], v[195:196], v[197:198]
	v_fma_f64 v[197:198], v[68:69], s[26:27], -v[185:186]
	v_add_f64 v[181:182], v[191:192], v[181:182]
	v_mul_f64 v[74:75], v[74:75], s[34:35]
	v_fma_f64 v[191:192], v[70:71], s[22:23], -v[92:93]
	v_fma_f64 v[185:186], v[68:69], s[26:27], v[185:186]
	v_fma_f64 v[70:71], v[70:71], s[22:23], v[92:93]
	v_add_f64 v[6:7], v[28:29], v[6:7]
	v_add_f64 v[36:37], v[36:37], v[189:190]
	v_fma_f64 v[189:190], v[68:69], s[22:23], v[38:39]
	v_add_f64 v[78:79], v[78:79], v[104:105]
	v_add_f64 v[104:105], v[177:178], v[193:194]
	;; [unrolled: 1-line block ×3, first 2 shown]
	v_fma_f64 v[38:39], v[68:69], s[22:23], -v[38:39]
	v_add_f64 v[68:69], v[76:77], v[98:99]
	v_add_f64 v[4:5], v[24:25], v[4:5]
	v_mul_f64 v[28:29], v[66:67], s[18:19]
	v_mul_f64 v[66:67], v[66:67], s[28:29]
	v_fma_f64 v[98:99], v[62:63], s[4:5], -v[153:154]
	v_fma_f64 v[62:63], v[62:63], s[6:7], v[72:73]
	v_add_f64 v[24:25], v[108:109], v[165:166]
	v_fma_f64 v[76:77], v[60:61], s[4:5], -v[183:184]
	v_fma_f64 v[108:109], v[60:61], s[4:5], v[183:184]
	v_add_f64 v[92:93], v[197:198], v[195:196]
	v_add_f64 v[100:101], v[151:152], v[181:182]
	v_fma_f64 v[120:121], v[60:61], s[6:7], v[74:75]
	v_fma_f64 v[60:61], v[60:61], s[6:7], -v[74:75]
	v_mul_f64 v[96:97], v[56:57], s[14:15]
	v_fma_f64 v[94:95], v[54:55], s[8:9], v[169:170]
	v_add_f64 v[6:7], v[20:21], v[6:7]
	v_add_f64 v[36:37], v[191:192], v[36:37]
	v_mul_f64 v[20:21], v[58:59], s[14:15]
	v_add_f64 v[78:79], v[189:190], v[78:79]
	v_add_f64 v[104:105], v[185:186], v[104:105]
	;; [unrolled: 1-line block ×3, first 2 shown]
	v_mul_f64 v[56:57], v[56:57], s[20:21]
	v_add_f64 v[38:39], v[38:39], v[68:69]
	v_add_f64 v[4:5], v[14:15], v[4:5]
	v_mul_f64 v[58:59], v[58:59], s[20:21]
	v_fma_f64 v[90:91], v[52:53], s[16:17], v[66:67]
	v_fma_f64 v[72:73], v[54:55], s[8:9], -v[169:170]
	v_add_f64 v[141:142], v[217:218], v[141:142]
	v_add_f64 v[14:15], v[114:115], v[24:25]
	v_fma_f64 v[24:25], v[52:53], s[8:9], -v[28:29]
	v_fma_f64 v[28:29], v[52:53], s[8:9], v[28:29]
	v_add_f64 v[68:69], v[76:77], v[92:93]
	v_fma_f64 v[76:77], v[54:55], s[16:17], -v[64:65]
	v_add_f64 v[74:75], v[98:99], v[100:101]
	v_fma_f64 v[54:55], v[54:55], s[16:17], v[64:65]
	v_fma_f64 v[52:53], v[52:53], s[16:17], -v[66:67]
	v_mul_f64 v[22:23], v[48:49], s[22:23]
	v_mul_f64 v[26:27], v[50:51], s[22:23]
	v_add_f64 v[36:37], v[116:117], v[36:37]
	v_add_f64 v[34:35], v[118:119], v[34:35]
	;; [unrolled: 1-line block ×7, first 2 shown]
	v_add_f64 v[30:31], v[32:33], -v[112:113]
	v_add_f64 v[4:5], v[12:13], v[4:5]
	v_fma_f64 v[145:146], v[50:51], s[16:17], v[135:136]
	v_fma_f64 v[175:176], v[48:49], s[16:17], -v[147:148]
	v_fma_f64 v[135:136], v[50:51], s[16:17], -v[135:136]
	v_fma_f64 v[147:148], v[48:49], s[16:17], v[147:148]
	v_fma_f64 v[64:65], v[50:51], s[6:7], v[96:97]
	v_add_f64 v[66:67], v[94:95], v[14:15]
	v_fma_f64 v[94:95], v[50:51], s[6:7], -v[96:97]
	v_fma_f64 v[96:97], v[50:51], s[4:5], -v[56:57]
	v_add_f64 v[72:73], v[72:73], v[74:75]
	v_fma_f64 v[74:75], v[48:49], s[6:7], v[20:21]
	v_fma_f64 v[32:33], v[48:49], s[8:9], v[187:188]
	v_add_f64 v[60:61], v[137:138], v[143:144]
	v_add_f64 v[141:142], v[207:208], v[141:142]
	;; [unrolled: 1-line block ×3, first 2 shown]
	v_fma_f64 v[76:77], v[48:49], s[4:5], v[58:59]
	v_add_f64 v[78:79], v[90:91], v[78:79]
	v_add_f64 v[28:29], v[28:29], v[92:93]
	v_fma_f64 v[102:103], v[48:49], s[8:9], -v[187:188]
	v_fma_f64 v[70:71], v[48:49], s[6:7], -v[20:21]
	v_add_f64 v[68:69], v[24:25], v[68:69]
	v_fma_f64 v[50:51], v[50:51], s[4:5], v[56:57]
	v_add_f64 v[54:55], v[54:55], v[62:63]
	v_fma_f64 v[48:49], v[48:49], s[4:5], -v[58:59]
	v_add_f64 v[52:53], v[52:53], v[38:39]
	v_add_f64 v[56:57], v[110:111], v[26:27]
	;; [unrolled: 1-line block ×3, first 2 shown]
	v_add_f64 v[62:63], v[22:23], -v[106:107]
	v_add_f64 v[90:91], v[30:31], v[4:5]
	v_add_f64 v[14:15], v[135:136], v[40:41]
	;; [unrolled: 1-line block ×23, first 2 shown]
	v_mul_u32_u24_e32 v56, 0xd0, v130
	v_add3_u32 v56, 0, v56, v162
	ds_write_b128 v56, v[0:3]
	ds_write_b128 v56, v[16:19] offset:16
	ds_write_b128 v56, v[40:43] offset:32
	;; [unrolled: 1-line block ×12, first 2 shown]
.LBB0_20:
	s_or_b32 exec_lo, exec_lo, s1
	s_waitcnt lgkmcnt(0)
	s_barrier
	buffer_gl0_inv
	ds_read_b128 v[20:23], v160
	ds_read_b128 v[4:7], v83 offset:624
	ds_read_b128 v[44:47], v83 offset:2912
	;; [unrolled: 1-line block ×11, first 2 shown]
	v_cmp_gt_u32_e64 s0, 26, v82
	s_and_saveexec_b32 s1, s0
	s_cbranch_execz .LBB0_22
; %bb.21:
	ds_read_b128 v[8:11], v83 offset:2496
	ds_read_b128 v[0:3], v83 offset:5408
	;; [unrolled: 1-line block ×3, first 2 shown]
.LBB0_22:
	s_or_b32 exec_lo, exec_lo, s1
	v_and_b32_e32 v60, 0xff, v82
	v_add_nc_u16 v61, v82, 0x4e
	v_and_b32_e32 v62, 0xff, v130
	v_add_nc_u16 v69, v82, 0x75
	s_mov_b32 s4, 0xe8584caa
	v_mul_lo_u16 v60, 0x4f, v60
	v_and_b32_e32 v63, 0xff, v61
	v_mul_lo_u16 v62, 0x4f, v62
	v_and_b32_e32 v64, 0xff, v69
	s_mov_b32 s5, 0xbfebb67a
	v_lshrrev_b16 v79, 10, v60
	v_mul_lo_u16 v63, 0x4f, v63
	v_lshrrev_b16 v120, 10, v62
	v_mul_lo_u16 v64, 0x4f, v64
	v_mov_b32_e32 v60, 5
	v_mul_lo_u16 v62, v79, 13
	v_lshrrev_b16 v121, 10, v63
	v_mul_lo_u16 v63, v120, 13
	v_lshrrev_b16 v123, 10, v64
	s_mov_b32 s7, 0x3febb67a
	v_sub_nc_u16 v122, v82, v62
	v_mul_lo_u16 v62, v121, 13
	v_sub_nc_u16 v124, v130, v63
	v_mul_lo_u16 v70, v123, 13
	s_mov_b32 s6, s4
	v_lshlrev_b32_sdwa v65, v60, v122 dst_sel:DWORD dst_unused:UNUSED_PAD src0_sel:DWORD src1_sel:BYTE_0
	v_sub_nc_u16 v125, v61, v62
	v_lshlrev_b32_sdwa v73, v60, v124 dst_sel:DWORD dst_unused:UNUSED_PAD src0_sel:DWORD src1_sel:BYTE_0
	v_sub_nc_u16 v126, v69, v70
	v_and_b32_e32 v79, 0xffff, v79
	s_clause 0x1
	global_load_dwordx4 v[61:64], v65, s[12:13]
	global_load_dwordx4 v[65:68], v65, s[12:13] offset:16
	v_lshlrev_b32_sdwa v77, v60, v125 dst_sel:DWORD dst_unused:UNUSED_PAD src0_sel:DWORD src1_sel:BYTE_0
	s_clause 0x1
	global_load_dwordx4 v[69:72], v73, s[12:13]
	global_load_dwordx4 v[73:76], v73, s[12:13] offset:16
	v_lshlrev_b32_sdwa v78, v60, v126 dst_sel:DWORD dst_unused:UNUSED_PAD src0_sel:DWORD src1_sel:BYTE_0
	v_mad_u32_u24 v79, 0x270, v79, 0
	s_clause 0x3
	global_load_dwordx4 v[90:93], v77, s[12:13]
	global_load_dwordx4 v[94:97], v77, s[12:13] offset:16
	global_load_dwordx4 v[98:101], v78, s[12:13]
	global_load_dwordx4 v[102:105], v78, s[12:13] offset:16
	s_waitcnt vmcnt(0) lgkmcnt(0)
	s_barrier
	buffer_gl0_inv
	v_mul_f64 v[77:78], v[46:47], v[63:64]
	v_mul_f64 v[106:107], v[54:55], v[67:68]
	;; [unrolled: 1-line block ×16, first 2 shown]
	v_fma_f64 v[44:45], v[44:45], v[61:62], v[77:78]
	v_fma_f64 v[52:53], v[52:53], v[65:66], v[106:107]
	v_fma_f64 v[46:47], v[46:47], v[61:62], -v[63:64]
	v_fma_f64 v[54:55], v[54:55], v[65:66], -v[67:68]
	v_fma_f64 v[61:62], v[28:29], v[69:70], v[108:109]
	v_fma_f64 v[36:37], v[36:37], v[73:74], v[110:111]
	v_fma_f64 v[29:30], v[30:31], v[69:70], -v[71:72]
	v_fma_f64 v[38:39], v[38:39], v[73:74], -v[75:76]
	;; [unrolled: 4-line block ×4, first 2 shown]
	v_and_b32_e32 v35, 0xffff, v120
	v_mov_b32_e32 v28, 4
	v_and_b32_e32 v113, 0xffff, v123
	v_mad_u32_u24 v112, 0x270, v35, 0
	v_add_f64 v[73:74], v[20:21], v[44:45]
	v_add_f64 v[63:64], v[44:45], v[52:53]
	v_add_f64 v[44:45], v[44:45], -v[52:53]
	v_add_f64 v[65:66], v[46:47], v[54:55]
	v_add_f64 v[77:78], v[46:47], -v[54:55]
	v_add_f64 v[67:68], v[61:62], v[36:37]
	v_add_f64 v[46:47], v[22:23], v[46:47]
	;; [unrolled: 1-line block ×9, first 2 shown]
	v_add_f64 v[106:107], v[29:30], -v[38:39]
	v_add_f64 v[92:93], v[33:34], v[42:43]
	v_add_f64 v[61:62], v[61:62], -v[36:37]
	v_add_f64 v[104:105], v[14:15], v[33:34]
	v_add_f64 v[98:99], v[24:25], v[48:49]
	v_add_f64 v[100:101], v[26:27], v[50:51]
	v_add_f64 v[50:51], v[50:51], -v[58:59]
	v_add_f64 v[108:109], v[48:49], -v[56:57]
	;; [unrolled: 1-line block ×3, first 2 shown]
	v_fma_f64 v[63:64], v[63:64], -0.5, v[20:21]
	v_and_b32_e32 v35, 0xffff, v121
	v_fma_f64 v[65:66], v[65:66], -0.5, v[22:23]
	v_lshlrev_b32_sdwa v114, v28, v122 dst_sel:DWORD dst_unused:UNUSED_PAD src0_sel:DWORD src1_sel:BYTE_0
	v_fma_f64 v[67:68], v[67:68], -0.5, v[4:5]
	v_add_f64 v[4:5], v[73:74], v[52:53]
	v_fma_f64 v[69:70], v[69:70], -0.5, v[6:7]
	v_add_f64 v[6:7], v[46:47], v[54:55]
	v_fma_f64 v[48:49], v[71:72], -0.5, v[24:25]
	v_add_f64 v[71:72], v[33:34], -v[42:43]
	v_fma_f64 v[75:76], v[75:76], -0.5, v[26:27]
	v_mad_u32_u24 v116, 0x270, v35, 0
	v_fma_f64 v[90:91], v[90:91], -0.5, v[12:13]
	v_add_f64 v[12:13], v[94:95], v[36:37]
	v_fma_f64 v[73:74], v[92:93], -0.5, v[14:15]
	v_add_f64 v[14:15], v[96:97], v[38:39]
	v_add_f64 v[24:25], v[102:103], v[40:41]
	;; [unrolled: 1-line block ×5, first 2 shown]
	v_lshlrev_b32_sdwa v115, v28, v124 dst_sel:DWORD dst_unused:UNUSED_PAD src0_sel:DWORD src1_sel:BYTE_0
	v_mad_u32_u24 v57, 0x270, v113, 0
	v_fma_f64 v[29:30], v[77:78], s[4:5], v[63:64]
	v_fma_f64 v[33:34], v[77:78], s[6:7], v[63:64]
	;; [unrolled: 1-line block ×16, first 2 shown]
	v_add3_u32 v58, v79, v114, v162
	v_lshlrev_b32_sdwa v65, v28, v125 dst_sel:DWORD dst_unused:UNUSED_PAD src0_sel:DWORD src1_sel:BYTE_0
	v_lshlrev_b32_sdwa v66, v28, v126 dst_sel:DWORD dst_unused:UNUSED_PAD src0_sel:DWORD src1_sel:BYTE_0
	v_add3_u32 v59, v112, v115, v162
	v_add3_u32 v65, v116, v65, v162
	;; [unrolled: 1-line block ×3, first 2 shown]
	ds_write_b128 v58, v[4:7]
	ds_write_b128 v58, v[29:32] offset:208
	ds_write_b128 v58, v[33:36] offset:416
	ds_write_b128 v59, v[12:15]
	ds_write_b128 v59, v[37:40] offset:208
	ds_write_b128 v59, v[41:44] offset:416
	;; [unrolled: 3-line block ×4, first 2 shown]
	s_and_saveexec_b32 s1, s0
	s_cbranch_execz .LBB0_24
; %bb.23:
	v_add_nc_u16 v4, v82, 0x9c
	v_and_b32_e32 v5, 0xff, v4
	v_mul_lo_u16 v5, 0x4f, v5
	v_lshrrev_b16 v24, 10, v5
	v_mul_lo_u16 v5, v24, 13
	v_sub_nc_u16 v25, v4, v5
	v_lshlrev_b32_sdwa v12, v60, v25 dst_sel:DWORD dst_unused:UNUSED_PAD src0_sel:DWORD src1_sel:BYTE_0
	s_clause 0x1
	global_load_dwordx4 v[4:7], v12, s[12:13]
	global_load_dwordx4 v[12:15], v12, s[12:13] offset:16
	s_waitcnt vmcnt(1)
	v_mul_f64 v[20:21], v[0:1], v[6:7]
	s_waitcnt vmcnt(0)
	v_mul_f64 v[22:23], v[16:17], v[14:15]
	v_mul_f64 v[6:7], v[2:3], v[6:7]
	;; [unrolled: 1-line block ×3, first 2 shown]
	v_fma_f64 v[2:3], v[2:3], v[4:5], -v[20:21]
	v_fma_f64 v[18:19], v[18:19], v[12:13], -v[22:23]
	v_fma_f64 v[0:1], v[0:1], v[4:5], v[6:7]
	v_fma_f64 v[4:5], v[16:17], v[12:13], v[14:15]
	v_add_f64 v[16:17], v[10:11], v[2:3]
	v_add_f64 v[6:7], v[2:3], v[18:19]
	v_add_f64 v[20:21], v[2:3], -v[18:19]
	v_add_f64 v[12:13], v[0:1], v[4:5]
	v_add_f64 v[14:15], v[0:1], -v[4:5]
	v_add_f64 v[0:1], v[8:9], v[0:1]
	v_add_f64 v[2:3], v[16:17], v[18:19]
	v_fma_f64 v[10:11], v[6:7], -0.5, v[10:11]
	v_fma_f64 v[12:13], v[12:13], -0.5, v[8:9]
	v_add_f64 v[0:1], v[0:1], v[4:5]
	v_fma_f64 v[6:7], v[14:15], s[4:5], v[10:11]
	v_fma_f64 v[10:11], v[14:15], s[6:7], v[10:11]
	;; [unrolled: 1-line block ×4, first 2 shown]
	v_and_b32_e32 v12, 0xffff, v24
	v_lshlrev_b32_sdwa v13, v28, v25 dst_sel:DWORD dst_unused:UNUSED_PAD src0_sel:DWORD src1_sel:BYTE_0
	v_mad_u32_u24 v12, 0x270, v12, 0
	v_add3_u32 v12, v12, v13, v162
	ds_write_b128 v12, v[0:3]
	ds_write_b128 v12, v[8:11] offset:208
	ds_write_b128 v12, v[4:7] offset:416
.LBB0_24:
	s_or_b32 exec_lo, exec_lo, s1
	v_mul_u32_u24_e32 v0, 6, v82
	s_waitcnt lgkmcnt(0)
	s_barrier
	buffer_gl0_inv
	v_add_co_u32 v124, s0, s12, v88
	v_lshlrev_b32_e32 v0, 4, v0
	v_add_co_ci_u32_e64 v125, s0, s13, v89, s0
	s_mov_b32 s14, 0x37e14327
	s_clause 0x5
	global_load_dwordx4 v[16:19], v0, s[12:13] offset:416
	global_load_dwordx4 v[12:15], v0, s[12:13] offset:432
	;; [unrolled: 1-line block ×6, first 2 shown]
	ds_read_b128 v[4:7], v160
	ds_read_b128 v[0:3], v83 offset:624
	ds_read_b128 v[64:67], v83 offset:1248
	;; [unrolled: 1-line block ×13, first 2 shown]
	s_mov_b32 s4, 0x36b3c0b5
	s_mov_b32 s16, 0xe976ee23
	;; [unrolled: 1-line block ×19, first 2 shown]
	s_waitcnt vmcnt(0) lgkmcnt(0)
	s_barrier
	buffer_gl0_inv
	v_mul_f64 v[88:89], v[66:67], v[18:19]
	v_mul_f64 v[90:91], v[64:65], v[18:19]
	v_mul_f64 v[92:93], v[70:71], v[14:15]
	v_mul_f64 v[94:95], v[68:69], v[14:15]
	v_mul_f64 v[100:101], v[78:79], v[26:27]
	v_mul_f64 v[102:103], v[76:77], v[26:27]
	v_mul_f64 v[104:105], v[74:75], v[30:31]
	v_mul_f64 v[106:107], v[72:73], v[30:31]
	v_mul_f64 v[96:97], v[58:59], v[10:11]
	v_mul_f64 v[98:99], v[56:57], v[10:11]
	v_mul_f64 v[108:109], v[62:63], v[22:23]
	v_mul_f64 v[110:111], v[60:61], v[22:23]
	v_mul_f64 v[112:113], v[46:47], v[18:19]
	v_mul_f64 v[18:19], v[44:45], v[18:19]
	v_mul_f64 v[114:115], v[42:43], v[14:15]
	v_mul_f64 v[14:15], v[40:41], v[14:15]
	v_mul_f64 v[118:119], v[54:55], v[26:27]
	v_mul_f64 v[26:27], v[52:53], v[26:27]
	v_mul_f64 v[122:123], v[50:51], v[30:31]
	v_mul_f64 v[30:31], v[48:49], v[30:31]
	v_mul_f64 v[116:117], v[34:35], v[10:11]
	v_mul_f64 v[10:11], v[32:33], v[10:11]
	v_mul_f64 v[120:121], v[38:39], v[22:23]
	v_mul_f64 v[22:23], v[36:37], v[22:23]
	v_fma_f64 v[64:65], v[64:65], v[16:17], v[88:89]
	v_fma_f64 v[66:67], v[66:67], v[16:17], -v[90:91]
	v_fma_f64 v[68:69], v[68:69], v[12:13], v[92:93]
	v_fma_f64 v[70:71], v[70:71], v[12:13], -v[94:95]
	;; [unrolled: 2-line block ×12, first 2 shown]
	v_add_f64 v[22:23], v[64:65], v[76:77]
	v_add_f64 v[32:33], v[66:67], v[78:79]
	;; [unrolled: 1-line block ×4, first 2 shown]
	v_add_f64 v[48:49], v[68:69], -v[72:73]
	v_add_f64 v[50:51], v[70:71], -v[74:75]
	v_add_f64 v[42:43], v[56:57], v[60:61]
	v_add_f64 v[46:47], v[58:59], v[62:63]
	v_add_f64 v[52:53], v[60:61], -v[56:57]
	v_add_f64 v[54:55], v[62:63], -v[58:59]
	v_add_f64 v[56:57], v[44:45], v[18:19]
	v_add_f64 v[58:59], v[16:17], v[24:25]
	;; [unrolled: 4-line block ×4, first 2 shown]
	v_add_f64 v[10:11], v[10:11], -v[30:31]
	v_add_f64 v[8:9], v[20:21], -v[8:9]
	;; [unrolled: 1-line block ×4, first 2 shown]
	v_add_f64 v[20:21], v[34:35], v[22:23]
	v_add_f64 v[30:31], v[36:37], v[32:33]
	v_add_f64 v[60:61], v[34:35], -v[22:23]
	v_add_f64 v[62:63], v[36:37], -v[32:33]
	v_add_f64 v[22:23], v[22:23], -v[42:43]
	v_add_f64 v[32:33], v[32:33], -v[46:47]
	v_add_f64 v[34:35], v[42:43], -v[34:35]
	v_add_f64 v[36:37], v[46:47], -v[36:37]
	v_add_f64 v[64:65], v[52:53], v[48:49]
	v_add_f64 v[66:67], v[54:55], v[50:51]
	v_add_f64 v[68:69], v[52:53], -v[48:49]
	v_add_f64 v[70:71], v[54:55], -v[50:51]
	v_add_f64 v[72:73], v[24:25], v[56:57]
	v_add_f64 v[74:75], v[44:45], v[58:59]
	v_add_f64 v[76:77], v[24:25], -v[56:57]
	v_add_f64 v[78:79], v[44:45], -v[58:59]
	;; [unrolled: 1-line block ×8, first 2 shown]
	v_add_f64 v[20:21], v[42:43], v[20:21]
	v_add_f64 v[30:31], v[46:47], v[30:31]
	;; [unrolled: 1-line block ×4, first 2 shown]
	v_add_f64 v[92:93], v[10:11], -v[14:15]
	v_add_f64 v[94:95], v[8:9], -v[12:13]
	;; [unrolled: 1-line block ×6, first 2 shown]
	v_add_f64 v[38:39], v[64:65], v[38:39]
	v_add_f64 v[40:41], v[66:67], v[40:41]
	v_add_f64 v[26:27], v[26:27], v[72:73]
	v_add_f64 v[28:29], v[28:29], v[74:75]
	v_mul_f64 v[22:23], v[22:23], s[14:15]
	v_mul_f64 v[32:33], v[32:33], s[14:15]
	;; [unrolled: 1-line block ×8, first 2 shown]
	v_add_f64 v[4:5], v[4:5], v[20:21]
	v_add_f64 v[6:7], v[6:7], v[30:31]
	v_add_f64 v[10:11], v[18:19], -v[10:11]
	v_add_f64 v[8:9], v[16:17], -v[8:9]
	v_add_f64 v[18:19], v[88:89], v[18:19]
	v_add_f64 v[16:17], v[90:91], v[16:17]
	v_mul_f64 v[56:57], v[56:57], s[14:15]
	v_mul_f64 v[58:59], v[58:59], s[14:15]
	;; [unrolled: 1-line block ×6, first 2 shown]
	v_add_f64 v[0:1], v[0:1], v[26:27]
	v_add_f64 v[2:3], v[2:3], v[28:29]
	v_mul_f64 v[72:73], v[24:25], s[4:5]
	v_mul_f64 v[74:75], v[44:45], s[4:5]
	v_fma_f64 v[34:35], v[34:35], s[4:5], v[22:23]
	v_fma_f64 v[36:37], v[36:37], s[4:5], v[32:33]
	v_fma_f64 v[42:43], v[60:61], s[18:19], -v[42:43]
	v_fma_f64 v[46:47], v[62:63], s[18:19], -v[46:47]
	;; [unrolled: 1-line block ×4, first 2 shown]
	v_fma_f64 v[60:61], v[52:53], s[22:23], v[64:65]
	v_fma_f64 v[62:63], v[54:55], s[22:23], v[66:67]
	;; [unrolled: 1-line block ×4, first 2 shown]
	v_fma_f64 v[48:49], v[48:49], s[6:7], -v[64:65]
	v_fma_f64 v[50:51], v[50:51], s[6:7], -v[66:67]
	;; [unrolled: 1-line block ×4, first 2 shown]
	v_fma_f64 v[24:25], v[24:25], s[4:5], v[56:57]
	v_fma_f64 v[44:45], v[44:45], s[4:5], v[58:59]
	;; [unrolled: 1-line block ×6, first 2 shown]
	v_fma_f64 v[10:11], v[10:11], s[24:25], -v[92:93]
	v_fma_f64 v[8:9], v[8:9], s[24:25], -v[94:95]
	;; [unrolled: 1-line block ×8, first 2 shown]
	v_fma_f64 v[60:61], v[38:39], s[20:21], v[60:61]
	v_fma_f64 v[62:63], v[40:41], s[20:21], v[62:63]
	v_add_f64 v[34:35], v[34:35], v[20:21]
	v_add_f64 v[36:37], v[36:37], v[30:31]
	v_fma_f64 v[48:49], v[38:39], s[20:21], v[48:49]
	v_fma_f64 v[50:51], v[40:41], s[20:21], v[50:51]
	;; [unrolled: 1-line block ×4, first 2 shown]
	v_add_f64 v[52:53], v[22:23], v[20:21]
	v_add_f64 v[32:33], v[32:33], v[30:31]
	v_add_f64 v[20:21], v[42:43], v[20:21]
	v_add_f64 v[22:23], v[46:47], v[30:31]
	v_fma_f64 v[54:55], v[18:19], s[20:21], v[68:69]
	v_fma_f64 v[68:69], v[16:17], s[20:21], v[70:71]
	v_add_f64 v[76:77], v[24:25], v[26:27]
	v_add_f64 v[78:79], v[44:45], v[28:29]
	v_fma_f64 v[72:73], v[18:19], s[20:21], v[10:11]
	v_fma_f64 v[74:75], v[16:17], s[20:21], v[8:9]
	v_add_f64 v[56:57], v[56:57], v[26:27]
	v_add_f64 v[58:59], v[58:59], v[28:29]
	;; [unrolled: 4-line block ×3, first 2 shown]
	v_add_f64 v[8:9], v[62:63], v[34:35]
	v_add_f64 v[10:11], v[36:37], -v[60:61]
	v_add_f64 v[28:29], v[34:35], -v[62:63]
	v_add_f64 v[30:31], v[60:61], v[36:37]
	v_add_co_u32 v66, s0, s12, v86
	v_add_f64 v[12:13], v[40:41], v[52:53]
	v_add_f64 v[14:15], v[32:33], -v[38:39]
	v_add_f64 v[16:17], v[20:21], -v[50:51]
	v_add_f64 v[18:19], v[48:49], v[22:23]
	v_add_f64 v[20:21], v[50:51], v[20:21]
	v_add_f64 v[22:23], v[22:23], -v[48:49]
	v_add_f64 v[24:25], v[52:53], -v[40:41]
	v_add_f64 v[26:27], v[38:39], v[32:33]
	v_add_f64 v[32:33], v[68:69], v[76:77]
	v_add_f64 v[34:35], v[78:79], -v[54:55]
	v_add_f64 v[36:37], v[74:75], v[56:57]
	v_add_f64 v[38:39], v[58:59], -v[72:73]
	v_add_co_ci_u32_e64 v67, s0, s13, v87, s0
	v_add_f64 v[40:41], v[44:45], -v[70:71]
	v_add_f64 v[42:43], v[46:47], v[64:65]
	v_add_f64 v[44:45], v[70:71], v[44:45]
	v_add_f64 v[46:47], v[64:65], -v[46:47]
	v_add_f64 v[48:49], v[56:57], -v[74:75]
	v_add_f64 v[50:51], v[72:73], v[58:59]
	v_add_f64 v[52:53], v[76:77], -v[68:69]
	v_add_f64 v[54:55], v[54:55], v[78:79]
	v_add_co_u32 v56, s0, 0x1000, v124
	v_add_co_ci_u32_e64 v57, s0, 0, v125, s0
	v_add_co_u32 v58, s0, 0x1000, v66
	v_add_co_ci_u32_e64 v59, s0, 0, v67, s0
	ds_write_b128 v83, v[4:7]
	ds_write_b128 v83, v[0:3] offset:4368
	ds_write_b128 v83, v[8:11] offset:624
	;; [unrolled: 1-line block ×13, first 2 shown]
	s_waitcnt lgkmcnt(0)
	s_barrier
	buffer_gl0_inv
	s_clause 0x1
	global_load_dwordx4 v[0:3], v[56:57], off offset:64
	global_load_dwordx4 v[4:7], v[58:59], off offset:688
	v_add_co_u32 v24, s0, 0x1800, v66
	v_add_co_ci_u32_e64 v25, s0, 0, v67, s0
	s_clause 0x4
	global_load_dwordx4 v[8:11], v[58:59], off offset:1312
	global_load_dwordx4 v[12:15], v[58:59], off offset:1936
	;; [unrolled: 1-line block ×5, first 2 shown]
	ds_read_b128 v[28:31], v83 offset:4368
	ds_read_b128 v[32:35], v83 offset:4992
	;; [unrolled: 1-line block ×8, first 2 shown]
	ds_read_b128 v[60:63], v160
	ds_read_b128 v[64:67], v83 offset:624
	ds_read_b128 v[68:71], v83 offset:1248
	;; [unrolled: 1-line block ×5, first 2 shown]
	s_waitcnt vmcnt(0) lgkmcnt(0)
	s_barrier
	buffer_gl0_inv
	v_mul_f64 v[90:91], v[30:31], v[2:3]
	v_mul_f64 v[2:3], v[28:29], v[2:3]
	;; [unrolled: 1-line block ×14, first 2 shown]
	v_fma_f64 v[28:29], v[28:29], v[0:1], v[90:91]
	v_fma_f64 v[2:3], v[30:31], v[0:1], -v[2:3]
	v_fma_f64 v[30:31], v[32:33], v[4:5], v[92:93]
	v_fma_f64 v[6:7], v[34:35], v[4:5], -v[6:7]
	v_fma_f64 v[32:33], v[36:37], v[8:9], v[94:95]
	v_fma_f64 v[10:11], v[38:39], v[8:9], -v[10:11]
	v_fma_f64 v[34:35], v[40:41], v[12:13], v[96:97]
	v_fma_f64 v[14:15], v[42:43], v[12:13], -v[14:15]
	v_fma_f64 v[36:37], v[44:45], v[16:17], v[98:99]
	v_fma_f64 v[18:19], v[46:47], v[16:17], -v[18:19]
	v_fma_f64 v[38:39], v[48:49], v[20:21], v[100:101]
	v_fma_f64 v[22:23], v[50:51], v[20:21], -v[22:23]
	v_fma_f64 v[40:41], v[52:53], v[24:25], v[102:103]
	v_fma_f64 v[26:27], v[54:55], v[24:25], -v[26:27]
	v_add_f64 v[0:1], v[60:61], -v[28:29]
	v_add_f64 v[2:3], v[62:63], -v[2:3]
	;; [unrolled: 1-line block ×14, first 2 shown]
	v_fma_f64 v[28:29], v[60:61], 2.0, -v[0:1]
	v_fma_f64 v[30:31], v[62:63], 2.0, -v[2:3]
	;; [unrolled: 1-line block ×14, first 2 shown]
	v_lshl_add_u32 v56, v158, 4, v161
	ds_write_b128 v83, v[0:3] offset:4368
	ds_write_b128 v56, v[4:7] offset:4992
	;; [unrolled: 1-line block ×7, first 2 shown]
	ds_write_b128 v83, v[28:31]
	ds_write_b128 v83, v[32:35] offset:624
	ds_write_b128 v83, v[36:39] offset:1248
	;; [unrolled: 1-line block ×6, first 2 shown]
	s_waitcnt lgkmcnt(0)
	s_barrier
	buffer_gl0_inv
	s_and_saveexec_b32 s0, vcc_lo
	s_cbranch_execz .LBB0_26
; %bb.25:
	v_mul_lo_u32 v2, s3, v84
	v_mul_lo_u32 v3, s2, v85
	v_mad_u64_u32 v[0:1], null, s2, v84, 0
	v_mov_b32_e32 v83, 0
	v_lshl_add_u32 v30, v82, 4, v159
	v_lshlrev_b64 v[12:13], 4, v[80:81]
	v_add_nc_u32_e32 v14, 39, v82
	v_add_nc_u32_e32 v16, 0x4e, v82
	v_mov_b32_e32 v15, v83
	v_add3_u32 v1, v1, v3, v2
	v_lshlrev_b64 v[18:19], 4, v[82:83]
	v_mov_b32_e32 v17, v83
	v_add_nc_u32_e32 v22, 0x75, v82
	v_mov_b32_e32 v23, v83
	v_lshlrev_b64 v[8:9], 4, v[0:1]
	ds_read_b128 v[0:3], v30
	ds_read_b128 v[4:7], v30 offset:624
	v_lshlrev_b64 v[16:17], 4, v[16:17]
	v_add_nc_u32_e32 v28, 0x138, v82
	v_mov_b32_e32 v29, v83
	v_add_co_u32 v20, vcc_lo, s10, v8
	v_add_co_ci_u32_e32 v21, vcc_lo, s11, v9, vcc_lo
	ds_read_b128 v[8:11], v30 offset:1248
	v_add_co_u32 v31, vcc_lo, v20, v12
	v_add_co_ci_u32_e32 v32, vcc_lo, v21, v13, vcc_lo
	v_lshlrev_b64 v[12:13], 4, v[14:15]
	v_add_co_u32 v18, vcc_lo, v31, v18
	v_add_co_ci_u32_e32 v19, vcc_lo, v32, v19, vcc_lo
	v_add_co_u32 v20, vcc_lo, v31, v12
	v_add_co_ci_u32_e32 v21, vcc_lo, v32, v13, vcc_lo
	ds_read_b128 v[12:15], v30 offset:1872
	s_waitcnt lgkmcnt(3)
	global_store_dwordx4 v[18:19], v[0:3], off
	s_waitcnt lgkmcnt(2)
	global_store_dwordx4 v[20:21], v[4:7], off
	v_lshlrev_b64 v[0:1], 4, v[22:23]
	v_add_co_u32 v2, vcc_lo, v31, v16
	v_add_co_ci_u32_e32 v3, vcc_lo, v32, v17, vcc_lo
	v_add_nc_u32_e32 v4, 0x9c, v82
	v_add_co_u32 v0, vcc_lo, v31, v0
	v_add_co_ci_u32_e32 v1, vcc_lo, v32, v1, vcc_lo
	v_mov_b32_e32 v5, v83
	s_waitcnt lgkmcnt(1)
	global_store_dwordx4 v[2:3], v[8:11], off
	v_add_nc_u32_e32 v8, 0xc3, v82
	v_mov_b32_e32 v9, v83
	v_add_nc_u32_e32 v16, 0xea, v82
	v_mov_b32_e32 v17, v83
	s_waitcnt lgkmcnt(0)
	global_store_dwordx4 v[0:1], v[12:15], off
	v_lshlrev_b64 v[12:13], 4, v[4:5]
	ds_read_b128 v[0:3], v30 offset:2496
	ds_read_b128 v[4:7], v30 offset:3120
	v_lshlrev_b64 v[14:15], 4, v[8:9]
	ds_read_b128 v[8:11], v30 offset:3744
	v_add_co_u32 v20, vcc_lo, v31, v12
	v_add_co_ci_u32_e32 v21, vcc_lo, v32, v13, vcc_lo
	v_lshlrev_b64 v[12:13], 4, v[16:17]
	v_add_nc_u32_e32 v16, 0x111, v82
	v_add_co_u32 v22, vcc_lo, v31, v14
	v_add_co_ci_u32_e32 v23, vcc_lo, v32, v15, vcc_lo
	v_lshlrev_b64 v[26:27], 4, v[16:17]
	ds_read_b128 v[16:19], v30 offset:4992
	v_add_co_u32 v24, vcc_lo, v31, v12
	v_add_co_ci_u32_e32 v25, vcc_lo, v32, v13, vcc_lo
	ds_read_b128 v[12:15], v30 offset:4368
	s_waitcnt lgkmcnt(4)
	global_store_dwordx4 v[20:21], v[0:3], off
	s_waitcnt lgkmcnt(3)
	global_store_dwordx4 v[22:23], v[4:7], off
	;; [unrolled: 2-line block ×3, first 2 shown]
	v_lshlrev_b64 v[0:1], 4, v[28:29]
	v_add_co_u32 v2, vcc_lo, v31, v26
	v_add_co_ci_u32_e32 v3, vcc_lo, v32, v27, vcc_lo
	v_add_nc_u32_e32 v4, 0x15f, v82
	v_mov_b32_e32 v5, v83
	v_add_co_u32 v6, vcc_lo, v31, v0
	v_add_co_ci_u32_e32 v7, vcc_lo, v32, v1, vcc_lo
	v_add_nc_u32_e32 v8, 0x186, v82
	v_mov_b32_e32 v9, v83
	v_lshlrev_b64 v[4:5], 4, v[4:5]
	s_waitcnt lgkmcnt(1)
	global_store_dwordx4 v[6:7], v[16:19], off
	v_add_nc_u32_e32 v24, 0x1d4, v82
	v_mov_b32_e32 v25, v83
	v_lshlrev_b64 v[6:7], 4, v[8:9]
	s_waitcnt lgkmcnt(0)
	global_store_dwordx4 v[2:3], v[12:15], off
	v_add_co_u32 v20, vcc_lo, v31, v4
	v_add_nc_u32_e32 v12, 0x1ad, v82
	v_mov_b32_e32 v13, v83
	v_add_co_ci_u32_e32 v21, vcc_lo, v32, v5, vcc_lo
	v_add_co_u32 v22, vcc_lo, v31, v6
	ds_read_b128 v[0:3], v30 offset:5616
	v_add_co_ci_u32_e32 v23, vcc_lo, v32, v7, vcc_lo
	ds_read_b128 v[4:7], v30 offset:6240
	ds_read_b128 v[8:11], v30 offset:6864
	v_lshlrev_b64 v[26:27], 4, v[12:13]
	ds_read_b128 v[12:15], v30 offset:7488
	ds_read_b128 v[16:19], v30 offset:8112
	v_add_nc_u32_e32 v82, 0x1fb, v82
	v_lshlrev_b64 v[24:25], 4, v[24:25]
	v_add_co_u32 v26, vcc_lo, v31, v26
	v_lshlrev_b64 v[28:29], 4, v[82:83]
	v_add_co_ci_u32_e32 v27, vcc_lo, v32, v27, vcc_lo
	v_add_co_u32 v24, vcc_lo, v31, v24
	v_add_co_ci_u32_e32 v25, vcc_lo, v32, v25, vcc_lo
	v_add_co_u32 v28, vcc_lo, v31, v28
	v_add_co_ci_u32_e32 v29, vcc_lo, v32, v29, vcc_lo
	s_waitcnt lgkmcnt(4)
	global_store_dwordx4 v[20:21], v[0:3], off
	s_waitcnt lgkmcnt(3)
	global_store_dwordx4 v[22:23], v[4:7], off
	;; [unrolled: 2-line block ×5, first 2 shown]
.LBB0_26:
	s_endpgm
	.section	.rodata,"a",@progbits
	.p2align	6, 0x0
	.amdhsa_kernel fft_rtc_back_len546_factors_13_3_7_2_wgs_117_tpt_39_halfLds_dp_op_CI_CI_unitstride_sbrr_C2R_dirReg
		.amdhsa_group_segment_fixed_size 0
		.amdhsa_private_segment_fixed_size 0
		.amdhsa_kernarg_size 104
		.amdhsa_user_sgpr_count 6
		.amdhsa_user_sgpr_private_segment_buffer 1
		.amdhsa_user_sgpr_dispatch_ptr 0
		.amdhsa_user_sgpr_queue_ptr 0
		.amdhsa_user_sgpr_kernarg_segment_ptr 1
		.amdhsa_user_sgpr_dispatch_id 0
		.amdhsa_user_sgpr_flat_scratch_init 0
		.amdhsa_user_sgpr_private_segment_size 0
		.amdhsa_wavefront_size32 1
		.amdhsa_uses_dynamic_stack 0
		.amdhsa_system_sgpr_private_segment_wavefront_offset 0
		.amdhsa_system_sgpr_workgroup_id_x 1
		.amdhsa_system_sgpr_workgroup_id_y 0
		.amdhsa_system_sgpr_workgroup_id_z 0
		.amdhsa_system_sgpr_workgroup_info 0
		.amdhsa_system_vgpr_workitem_id 0
		.amdhsa_next_free_vgpr 219
		.amdhsa_next_free_sgpr 44
		.amdhsa_reserve_vcc 1
		.amdhsa_reserve_flat_scratch 0
		.amdhsa_float_round_mode_32 0
		.amdhsa_float_round_mode_16_64 0
		.amdhsa_float_denorm_mode_32 3
		.amdhsa_float_denorm_mode_16_64 3
		.amdhsa_dx10_clamp 1
		.amdhsa_ieee_mode 1
		.amdhsa_fp16_overflow 0
		.amdhsa_workgroup_processor_mode 1
		.amdhsa_memory_ordered 1
		.amdhsa_forward_progress 0
		.amdhsa_shared_vgpr_count 0
		.amdhsa_exception_fp_ieee_invalid_op 0
		.amdhsa_exception_fp_denorm_src 0
		.amdhsa_exception_fp_ieee_div_zero 0
		.amdhsa_exception_fp_ieee_overflow 0
		.amdhsa_exception_fp_ieee_underflow 0
		.amdhsa_exception_fp_ieee_inexact 0
		.amdhsa_exception_int_div_zero 0
	.end_amdhsa_kernel
	.text
.Lfunc_end0:
	.size	fft_rtc_back_len546_factors_13_3_7_2_wgs_117_tpt_39_halfLds_dp_op_CI_CI_unitstride_sbrr_C2R_dirReg, .Lfunc_end0-fft_rtc_back_len546_factors_13_3_7_2_wgs_117_tpt_39_halfLds_dp_op_CI_CI_unitstride_sbrr_C2R_dirReg
                                        ; -- End function
	.section	.AMDGPU.csdata,"",@progbits
; Kernel info:
; codeLenInByte = 16116
; NumSgprs: 46
; NumVgprs: 219
; ScratchSize: 0
; MemoryBound: 0
; FloatMode: 240
; IeeeMode: 1
; LDSByteSize: 0 bytes/workgroup (compile time only)
; SGPRBlocks: 5
; VGPRBlocks: 27
; NumSGPRsForWavesPerEU: 46
; NumVGPRsForWavesPerEU: 219
; Occupancy: 4
; WaveLimiterHint : 1
; COMPUTE_PGM_RSRC2:SCRATCH_EN: 0
; COMPUTE_PGM_RSRC2:USER_SGPR: 6
; COMPUTE_PGM_RSRC2:TRAP_HANDLER: 0
; COMPUTE_PGM_RSRC2:TGID_X_EN: 1
; COMPUTE_PGM_RSRC2:TGID_Y_EN: 0
; COMPUTE_PGM_RSRC2:TGID_Z_EN: 0
; COMPUTE_PGM_RSRC2:TIDIG_COMP_CNT: 0
	.text
	.p2alignl 6, 3214868480
	.fill 48, 4, 3214868480
	.type	__hip_cuid_c4d1aa920ef0fade,@object ; @__hip_cuid_c4d1aa920ef0fade
	.section	.bss,"aw",@nobits
	.globl	__hip_cuid_c4d1aa920ef0fade
__hip_cuid_c4d1aa920ef0fade:
	.byte	0                               ; 0x0
	.size	__hip_cuid_c4d1aa920ef0fade, 1

	.ident	"AMD clang version 19.0.0git (https://github.com/RadeonOpenCompute/llvm-project roc-6.4.0 25133 c7fe45cf4b819c5991fe208aaa96edf142730f1d)"
	.section	".note.GNU-stack","",@progbits
	.addrsig
	.addrsig_sym __hip_cuid_c4d1aa920ef0fade
	.amdgpu_metadata
---
amdhsa.kernels:
  - .args:
      - .actual_access:  read_only
        .address_space:  global
        .offset:         0
        .size:           8
        .value_kind:     global_buffer
      - .offset:         8
        .size:           8
        .value_kind:     by_value
      - .actual_access:  read_only
        .address_space:  global
        .offset:         16
        .size:           8
        .value_kind:     global_buffer
      - .actual_access:  read_only
        .address_space:  global
        .offset:         24
        .size:           8
        .value_kind:     global_buffer
      - .actual_access:  read_only
        .address_space:  global
        .offset:         32
        .size:           8
        .value_kind:     global_buffer
      - .offset:         40
        .size:           8
        .value_kind:     by_value
      - .actual_access:  read_only
        .address_space:  global
        .offset:         48
        .size:           8
        .value_kind:     global_buffer
      - .actual_access:  read_only
        .address_space:  global
        .offset:         56
        .size:           8
        .value_kind:     global_buffer
      - .offset:         64
        .size:           4
        .value_kind:     by_value
      - .actual_access:  read_only
        .address_space:  global
        .offset:         72
        .size:           8
        .value_kind:     global_buffer
      - .actual_access:  read_only
        .address_space:  global
        .offset:         80
        .size:           8
        .value_kind:     global_buffer
      - .actual_access:  read_only
        .address_space:  global
        .offset:         88
        .size:           8
        .value_kind:     global_buffer
      - .actual_access:  write_only
        .address_space:  global
        .offset:         96
        .size:           8
        .value_kind:     global_buffer
    .group_segment_fixed_size: 0
    .kernarg_segment_align: 8
    .kernarg_segment_size: 104
    .language:       OpenCL C
    .language_version:
      - 2
      - 0
    .max_flat_workgroup_size: 117
    .name:           fft_rtc_back_len546_factors_13_3_7_2_wgs_117_tpt_39_halfLds_dp_op_CI_CI_unitstride_sbrr_C2R_dirReg
    .private_segment_fixed_size: 0
    .sgpr_count:     46
    .sgpr_spill_count: 0
    .symbol:         fft_rtc_back_len546_factors_13_3_7_2_wgs_117_tpt_39_halfLds_dp_op_CI_CI_unitstride_sbrr_C2R_dirReg.kd
    .uniform_work_group_size: 1
    .uses_dynamic_stack: false
    .vgpr_count:     219
    .vgpr_spill_count: 0
    .wavefront_size: 32
    .workgroup_processor_mode: 1
amdhsa.target:   amdgcn-amd-amdhsa--gfx1030
amdhsa.version:
  - 1
  - 2
...

	.end_amdgpu_metadata
